;; amdgpu-corpus repo=ROCm/rocFFT kind=compiled arch=gfx906 opt=O3
	.text
	.amdgcn_target "amdgcn-amd-amdhsa--gfx906"
	.amdhsa_code_object_version 6
	.protected	bluestein_single_fwd_len1950_dim1_dp_op_CI_CI ; -- Begin function bluestein_single_fwd_len1950_dim1_dp_op_CI_CI
	.globl	bluestein_single_fwd_len1950_dim1_dp_op_CI_CI
	.p2align	8
	.type	bluestein_single_fwd_len1950_dim1_dp_op_CI_CI,@function
bluestein_single_fwd_len1950_dim1_dp_op_CI_CI: ; @bluestein_single_fwd_len1950_dim1_dp_op_CI_CI
; %bb.0:
	s_mov_b64 s[54:55], s[2:3]
	s_mov_b64 s[52:53], s[0:1]
	s_load_dwordx4 s[0:3], s[4:5], 0x28
	v_mul_u32_u24_e32 v1, 0x151, v0
	v_add_u32_sdwa v209, s6, v1 dst_sel:DWORD dst_unused:UNUSED_PAD src0_sel:DWORD src1_sel:WORD_1
	v_mov_b32_e32 v210, 0
	s_add_u32 s52, s52, s7
	s_waitcnt lgkmcnt(0)
	v_cmp_gt_u64_e32 vcc, s[0:1], v[209:210]
	s_addc_u32 s53, s53, 0
	s_and_saveexec_b64 s[0:1], vcc
	s_cbranch_execz .LBB0_23
; %bb.1:
	s_load_dwordx2 s[14:15], s[4:5], 0x0
	s_load_dwordx2 s[12:13], s[4:5], 0x38
	s_movk_i32 s0, 0xc3
	v_mul_lo_u16_sdwa v1, v1, s0 dst_sel:DWORD dst_unused:UNUSED_PAD src0_sel:WORD_1 src1_sel:DWORD
	v_sub_u16_e32 v203, v0, v1
	s_movk_i32 s0, 0x96
	v_cmp_gt_u16_e64 s[0:1], s0, v203
	v_lshlrev_b32_e32 v255, 4, v203
	s_and_saveexec_b64 s[6:7], s[0:1]
	s_cbranch_execz .LBB0_3
; %bb.2:
	s_load_dwordx2 s[8:9], s[4:5], 0x18
	s_waitcnt lgkmcnt(0)
	s_load_dwordx4 s[8:11], s[8:9], 0x0
	s_waitcnt lgkmcnt(0)
	v_mad_u64_u32 v[0:1], s[16:17], s10, v209, 0
	v_mad_u64_u32 v[2:3], s[16:17], s8, v203, 0
	;; [unrolled: 1-line block ×4, first 2 shown]
	v_mov_b32_e32 v1, v4
	v_lshlrev_b64 v[0:1], 4, v[0:1]
	v_mov_b32_e32 v3, v5
	v_mov_b32_e32 v6, s3
	v_lshlrev_b64 v[2:3], 4, v[2:3]
	v_add_co_u32_e32 v0, vcc, s2, v0
	v_addc_co_u32_e32 v1, vcc, v6, v1, vcc
	v_add_co_u32_e32 v16, vcc, v0, v2
	v_addc_co_u32_e32 v17, vcc, v1, v3, vcc
	v_mov_b32_e32 v0, s15
	v_add_co_u32_e32 v100, vcc, s14, v255
	s_mul_i32 s2, s9, 0x960
	s_mul_hi_u32 s3, s8, 0x960
	v_addc_co_u32_e32 v101, vcc, 0, v0, vcc
	s_add_i32 s2, s3, s2
	s_mul_i32 s3, s8, 0x960
	v_mov_b32_e32 v4, s2
	v_add_co_u32_e32 v18, vcc, s3, v16
	v_addc_co_u32_e32 v19, vcc, v17, v4, vcc
	global_load_dwordx4 v[0:3], v255, s[14:15]
	global_load_dwordx4 v[4:7], v[16:17], off
	global_load_dwordx4 v[8:11], v[18:19], off
	global_load_dwordx4 v[12:15], v255, s[14:15] offset:2400
	v_mov_b32_e32 v16, s2
	v_add_co_u32_e32 v20, vcc, s3, v18
	v_addc_co_u32_e32 v21, vcc, v19, v16, vcc
	s_movk_i32 s8, 0x1000
	v_add_co_u32_e32 v28, vcc, s8, v100
	v_addc_co_u32_e32 v29, vcc, 0, v101, vcc
	v_mov_b32_e32 v22, s2
	v_add_co_u32_e32 v36, vcc, s3, v20
	v_addc_co_u32_e32 v37, vcc, v21, v22, vcc
	global_load_dwordx4 v[16:19], v[20:21], off
	s_nop 0
	global_load_dwordx4 v[20:23], v[28:29], off offset:704
	global_load_dwordx4 v[24:27], v[28:29], off offset:3104
	v_mov_b32_e32 v28, s2
	v_add_co_u32_e32 v38, vcc, s3, v36
	v_addc_co_u32_e32 v39, vcc, v37, v28, vcc
	s_movk_i32 s8, 0x2000
	v_add_co_u32_e32 v48, vcc, s8, v100
	v_addc_co_u32_e32 v49, vcc, 0, v101, vcc
	global_load_dwordx4 v[28:31], v[36:37], off
	global_load_dwordx4 v[32:35], v[38:39], off
	v_mov_b32_e32 v36, s2
	v_add_co_u32_e32 v50, vcc, s3, v38
	v_addc_co_u32_e32 v51, vcc, v39, v36, vcc
	global_load_dwordx4 v[36:39], v[50:51], off
	global_load_dwordx4 v[40:43], v[48:49], off offset:1408
	global_load_dwordx4 v[44:47], v[48:49], off offset:3808
	v_mov_b32_e32 v48, s2
	v_add_co_u32_e32 v56, vcc, s3, v50
	v_addc_co_u32_e32 v57, vcc, v51, v48, vcc
	s_movk_i32 s8, 0x3000
	v_add_co_u32_e32 v52, vcc, s8, v100
	v_addc_co_u32_e32 v53, vcc, 0, v101, vcc
	v_mov_b32_e32 v58, s2
	v_add_co_u32_e32 v60, vcc, s3, v56
	v_addc_co_u32_e32 v61, vcc, v57, v58, vcc
	s_movk_i32 s8, 0x4000
	v_add_co_u32_e32 v72, vcc, s8, v100
	v_addc_co_u32_e32 v73, vcc, 0, v101, vcc
	v_mov_b32_e32 v62, s2
	v_add_co_u32_e32 v74, vcc, s3, v60
	v_addc_co_u32_e32 v75, vcc, v61, v62, vcc
	global_load_dwordx4 v[48:51], v[56:57], off
	v_add_co_u32_e32 v76, vcc, s3, v74
	global_load_dwordx4 v[52:55], v[52:53], off offset:2112
	s_movk_i32 s8, 0x5000
	global_load_dwordx4 v[56:59], v[60:61], off
	s_nop 0
	global_load_dwordx4 v[60:63], v[74:75], off
	global_load_dwordx4 v[64:67], v[72:73], off offset:416
	global_load_dwordx4 v[68:71], v[72:73], off offset:2816
	v_mov_b32_e32 v72, s2
	v_addc_co_u32_e32 v77, vcc, v75, v72, vcc
	v_add_co_u32_e32 v88, vcc, s8, v100
	v_addc_co_u32_e32 v89, vcc, 0, v101, vcc
	v_mov_b32_e32 v78, s2
	v_add_co_u32_e32 v90, vcc, s3, v76
	v_addc_co_u32_e32 v91, vcc, v77, v78, vcc
	global_load_dwordx4 v[72:75], v[76:77], off
	s_nop 0
	global_load_dwordx4 v[76:79], v[90:91], off
	global_load_dwordx4 v[80:83], v[88:89], off offset:1120
	global_load_dwordx4 v[84:87], v[88:89], off offset:3520
	v_mov_b32_e32 v88, s2
	v_add_co_u32_e32 v96, vcc, s3, v90
	v_addc_co_u32_e32 v97, vcc, v91, v88, vcc
	s_movk_i32 s8, 0x6000
	v_add_co_u32_e32 v92, vcc, s8, v100
	v_addc_co_u32_e32 v93, vcc, 0, v101, vcc
	global_load_dwordx4 v[88:91], v[96:97], off
	v_mov_b32_e32 v98, s2
	v_add_co_u32_e32 v96, vcc, s3, v96
	v_addc_co_u32_e32 v97, vcc, v97, v98, vcc
	s_movk_i32 s2, 0x7000
	v_add_co_u32_e32 v100, vcc, s2, v100
	global_load_dwordx4 v[92:95], v[92:93], off offset:1824
	v_addc_co_u32_e32 v101, vcc, 0, v101, vcc
	global_load_dwordx4 v[96:99], v[96:97], off
	s_waitcnt vmcnt(23)
	v_mul_f64 v[104:105], v[6:7], v[2:3]
	global_load_dwordx4 v[100:103], v[100:101], off offset:128
	v_mul_f64 v[106:107], v[4:5], v[2:3]
	v_fma_f64 v[2:3], v[4:5], v[0:1], v[104:105]
	s_waitcnt vmcnt(20)
	v_mul_f64 v[104:105], v[18:19], v[22:23]
	v_fma_f64 v[4:5], v[6:7], v[0:1], -v[106:107]
	v_mul_f64 v[0:1], v[10:11], v[14:15]
	v_mul_f64 v[14:15], v[8:9], v[14:15]
	;; [unrolled: 1-line block ×3, first 2 shown]
	s_waitcnt vmcnt(18)
	v_mul_f64 v[106:107], v[30:31], v[26:27]
	v_mul_f64 v[26:27], v[28:29], v[26:27]
	s_waitcnt vmcnt(15)
	v_mul_f64 v[108:109], v[34:35], v[42:43]
	v_mul_f64 v[42:43], v[32:33], v[42:43]
	v_fma_f64 v[6:7], v[8:9], v[12:13], v[0:1]
	v_fma_f64 v[8:9], v[10:11], v[12:13], -v[14:15]
	v_fma_f64 v[10:11], v[16:17], v[20:21], v[104:105]
	v_fma_f64 v[12:13], v[18:19], v[20:21], -v[22:23]
	;; [unrolled: 2-line block ×4, first 2 shown]
	ds_write_b128 v255, v[2:5]
	ds_write_b128 v255, v[6:9] offset:2400
	ds_write_b128 v255, v[10:13] offset:4800
	;; [unrolled: 1-line block ×4, first 2 shown]
	s_waitcnt vmcnt(14)
	v_mul_f64 v[0:1], v[38:39], v[46:47]
	v_mul_f64 v[2:3], v[36:37], v[46:47]
	s_waitcnt vmcnt(12)
	v_mul_f64 v[4:5], v[50:51], v[54:55]
	v_mul_f64 v[6:7], v[48:49], v[54:55]
	;; [unrolled: 3-line block ×4, first 2 shown]
	v_fma_f64 v[0:1], v[36:37], v[44:45], v[0:1]
	v_fma_f64 v[2:3], v[38:39], v[44:45], -v[2:3]
	v_fma_f64 v[4:5], v[48:49], v[52:53], v[4:5]
	v_fma_f64 v[6:7], v[50:51], v[52:53], -v[6:7]
	;; [unrolled: 2-line block ×4, first 2 shown]
	s_waitcnt vmcnt(5)
	v_mul_f64 v[16:17], v[74:75], v[82:83]
	v_mul_f64 v[18:19], v[72:73], v[82:83]
	s_waitcnt vmcnt(4)
	v_mul_f64 v[20:21], v[78:79], v[86:87]
	v_mul_f64 v[22:23], v[76:77], v[86:87]
	v_fma_f64 v[16:17], v[72:73], v[80:81], v[16:17]
	v_fma_f64 v[18:19], v[74:75], v[80:81], -v[18:19]
	v_fma_f64 v[20:21], v[76:77], v[84:85], v[20:21]
	v_fma_f64 v[22:23], v[78:79], v[84:85], -v[22:23]
	s_waitcnt vmcnt(2)
	v_mul_f64 v[24:25], v[90:91], v[94:95]
	v_mul_f64 v[26:27], v[88:89], v[94:95]
	s_waitcnt vmcnt(0)
	v_mul_f64 v[28:29], v[98:99], v[102:103]
	v_mul_f64 v[30:31], v[96:97], v[102:103]
	v_fma_f64 v[24:25], v[88:89], v[92:93], v[24:25]
	v_fma_f64 v[26:27], v[90:91], v[92:93], -v[26:27]
	v_fma_f64 v[28:29], v[96:97], v[100:101], v[28:29]
	v_fma_f64 v[30:31], v[98:99], v[100:101], -v[30:31]
	ds_write_b128 v255, v[0:3] offset:12000
	ds_write_b128 v255, v[4:7] offset:14400
	ds_write_b128 v255, v[8:11] offset:16800
	ds_write_b128 v255, v[12:15] offset:19200
	ds_write_b128 v255, v[16:19] offset:21600
	ds_write_b128 v255, v[20:23] offset:24000
	ds_write_b128 v255, v[24:27] offset:26400
	ds_write_b128 v255, v[28:31] offset:28800
.LBB0_3:
	s_or_b64 exec, exec, s[6:7]
	s_load_dwordx2 s[2:3], s[4:5], 0x20
	s_load_dwordx2 s[8:9], s[4:5], 0x8
	s_waitcnt lgkmcnt(0)
	s_barrier
	s_waitcnt lgkmcnt(0)
                                        ; implicit-def: $vgpr4_vgpr5
                                        ; implicit-def: $vgpr8_vgpr9
                                        ; implicit-def: $vgpr12_vgpr13
                                        ; implicit-def: $vgpr16_vgpr17
                                        ; implicit-def: $vgpr20_vgpr21
                                        ; implicit-def: $vgpr24_vgpr25
                                        ; implicit-def: $vgpr28_vgpr29
                                        ; implicit-def: $vgpr32_vgpr33
                                        ; implicit-def: $vgpr36_vgpr37
                                        ; implicit-def: $vgpr40_vgpr41
                                        ; implicit-def: $vgpr44_vgpr45
                                        ; implicit-def: $vgpr48_vgpr49
                                        ; implicit-def: $vgpr52_vgpr53
	s_and_saveexec_b64 s[4:5], s[0:1]
	s_cbranch_execz .LBB0_5
; %bb.4:
	ds_read_b128 v[4:7], v255
	ds_read_b128 v[8:11], v255 offset:2400
	ds_read_b128 v[12:15], v255 offset:4800
	;; [unrolled: 1-line block ×12, first 2 shown]
.LBB0_5:
	s_or_b64 exec, exec, s[4:5]
	s_waitcnt lgkmcnt(0)
	v_add_f64 v[86:87], v[10:11], -v[54:55]
	v_add_f64 v[78:79], v[8:9], -v[52:53]
	s_mov_b32 s10, 0x42a4c3d2
	s_mov_b32 s11, 0xbfea55e2
	v_add_f64 v[74:75], v[8:9], v[52:53]
	v_add_f64 v[94:95], v[10:11], v[54:55]
	v_add_f64 v[100:101], v[14:15], -v[50:51]
	v_add_f64 v[90:91], v[12:13], -v[48:49]
	v_mul_f64 v[88:89], v[86:87], s[10:11]
	v_mul_f64 v[148:149], v[78:79], s[10:11]
	s_mov_b32 s18, 0x4267c47c
	s_mov_b32 s4, 0x1ea71119
	;; [unrolled: 1-line block ×6, first 2 shown]
	v_mul_f64 v[56:57], v[86:87], s[18:19]
	v_mul_f64 v[58:59], v[78:79], s[18:19]
	v_add_f64 v[80:81], v[12:13], v[48:49]
	v_add_f64 v[122:123], v[14:15], v[50:51]
	v_add_f64 v[124:125], v[18:19], -v[46:47]
	v_add_f64 v[112:113], v[16:17], -v[44:45]
	v_fma_f64 v[96:97], v[74:75], s[4:5], v[88:89]
	v_mul_f64 v[92:93], v[100:101], s[26:27]
	v_fma_f64 v[104:105], v[94:95], s[4:5], -v[148:149]
	v_mul_f64 v[116:117], v[90:91], s[26:27]
	s_mov_b32 s6, 0xe00740e9
	s_mov_b32 s22, 0x66966769
	;; [unrolled: 1-line block ×8, first 2 shown]
	v_fma_f64 v[0:1], v[74:75], s[6:7], v[56:57]
	v_fma_f64 v[2:3], v[94:95], s[6:7], -v[58:59]
	v_mul_f64 v[60:61], v[100:101], s[10:11]
	v_mul_f64 v[62:63], v[90:91], s[10:11]
	v_add_f64 v[98:99], v[16:17], v[44:45]
	v_add_f64 v[132:133], v[18:19], v[46:47]
	v_add_f64 v[136:137], v[22:23], -v[42:43]
	v_add_f64 v[120:121], v[20:21], -v[40:41]
	v_add_f64 v[106:107], v[4:5], v[96:97]
	v_fma_f64 v[108:109], v[80:81], s[24:25], v[92:93]
	v_add_f64 v[104:105], v[6:7], v[104:105]
	v_fma_f64 v[110:111], v[122:123], s[24:25], -v[116:117]
	v_mul_f64 v[96:97], v[124:125], s[36:37]
	v_mul_f64 v[118:119], v[112:113], s[36:37]
	;; [unrolled: 1-line block ×4, first 2 shown]
	s_mov_b32 s16, 0xebaa3ed8
	s_mov_b32 s30, 0x24c2f84
	;; [unrolled: 1-line block ×6, first 2 shown]
	v_add_f64 v[0:1], v[4:5], v[0:1]
	v_add_f64 v[2:3], v[6:7], v[2:3]
	v_fma_f64 v[68:69], v[80:81], s[4:5], v[60:61]
	v_fma_f64 v[70:71], v[122:123], s[4:5], -v[62:63]
	v_mul_f64 v[64:65], v[124:125], s[22:23]
	v_mul_f64 v[66:67], v[112:113], s[22:23]
	v_add_f64 v[102:103], v[20:21], v[40:41]
	v_add_f64 v[134:135], v[22:23], v[42:43]
	v_add_f64 v[106:107], v[108:109], v[106:107]
	v_add_f64 v[104:105], v[110:111], v[104:105]
	v_fma_f64 v[108:109], v[98:99], s[34:35], v[96:97]
	v_fma_f64 v[110:111], v[132:133], s[34:35], -v[118:119]
	v_mul_f64 v[114:115], v[136:137], s[30:31]
	v_mul_f64 v[138:139], v[120:121], s[30:31]
	v_fma_f64 v[126:127], v[74:75], s[16:17], v[142:143]
	v_mul_f64 v[144:145], v[100:101], s[36:37]
	v_fma_f64 v[130:131], v[94:95], s[16:17], -v[199:200]
	v_mul_f64 v[201:202], v[90:91], s[36:37]
	s_mov_b32 s28, 0xd0032e0c
	s_mov_b32 s29, 0xbfe7f3cc
	;; [unrolled: 1-line block ×4, first 2 shown]
	v_add_f64 v[0:1], v[68:69], v[0:1]
	v_add_f64 v[2:3], v[70:71], v[2:3]
	v_fma_f64 v[72:73], v[98:99], s[16:17], v[64:65]
	v_mul_f64 v[68:69], v[136:137], s[26:27]
	v_fma_f64 v[76:77], v[132:133], s[16:17], -v[66:67]
	v_mul_f64 v[70:71], v[120:121], s[26:27]
	v_add_f64 v[140:141], v[26:27], -v[38:39]
	v_add_f64 v[156:157], v[24:25], -v[36:37]
	v_add_f64 v[106:107], v[108:109], v[106:107]
	v_add_f64 v[104:105], v[110:111], v[104:105]
	v_fma_f64 v[108:109], v[102:103], s[28:29], v[114:115]
	v_fma_f64 v[110:111], v[134:135], s[28:29], -v[138:139]
	v_add_f64 v[126:127], v[4:5], v[126:127]
	v_fma_f64 v[150:151], v[80:81], s[34:35], v[144:145]
	v_add_f64 v[130:131], v[6:7], v[130:131]
	v_fma_f64 v[152:153], v[122:123], s[34:35], -v[201:202]
	v_mul_f64 v[146:147], v[124:125], s[44:45]
	v_mul_f64 v[162:163], v[112:113], s[44:45]
	s_mov_b32 s39, 0xbfe5384d
	s_mov_b32 s38, s30
	;; [unrolled: 1-line block ×4, first 2 shown]
	v_add_f64 v[0:1], v[72:73], v[0:1]
	v_fma_f64 v[82:83], v[102:103], s[24:25], v[68:69]
	v_add_f64 v[128:129], v[24:25], v[36:37]
	v_mul_f64 v[72:73], v[140:141], s[38:39]
	v_add_f64 v[2:3], v[76:77], v[2:3]
	v_fma_f64 v[84:85], v[134:135], s[24:25], -v[70:71]
	v_add_f64 v[158:159], v[26:27], v[38:39]
	v_mul_f64 v[76:77], v[156:157], s[38:39]
	v_add_f64 v[106:107], v[108:109], v[106:107]
	v_add_f64 v[104:105], v[110:111], v[104:105]
	;; [unrolled: 1-line block ×4, first 2 shown]
	v_fma_f64 v[130:131], v[98:99], s[24:25], v[146:147]
	v_fma_f64 v[154:155], v[132:133], s[24:25], -v[162:163]
	v_mul_f64 v[150:151], v[136:137], s[40:41]
	v_mul_f64 v[167:168], v[120:121], s[40:41]
	s_mov_b32 s43, 0x3fefc445
	s_mov_b32 s42, s22
	v_add_f64 v[0:1], v[82:83], v[0:1]
	v_fma_f64 v[82:83], v[128:129], s[28:29], v[72:73]
	v_add_f64 v[2:3], v[84:85], v[2:3]
	v_fma_f64 v[84:85], v[158:159], s[28:29], -v[76:77]
	v_add_f64 v[187:188], v[30:31], -v[34:35]
	v_add_f64 v[191:192], v[28:29], -v[32:33]
	v_mul_f64 v[126:127], v[140:141], s[42:43]
	v_mul_f64 v[152:153], v[156:157], s[42:43]
	v_add_f64 v[108:109], v[130:131], v[108:109]
	v_add_f64 v[110:111], v[154:155], v[110:111]
	v_fma_f64 v[164:165], v[102:103], s[6:7], v[150:151]
	v_fma_f64 v[171:172], v[134:135], s[6:7], -v[167:168]
	v_mul_f64 v[154:155], v[140:141], s[10:11]
	v_mul_f64 v[169:170], v[156:157], s[10:11]
	v_add_f64 v[0:1], v[82:83], v[0:1]
	v_add_f64 v[2:3], v[84:85], v[2:3]
	;; [unrolled: 1-line block ×3, first 2 shown]
	v_mul_f64 v[82:83], v[187:188], s[36:37]
	v_add_f64 v[189:190], v[30:31], v[34:35]
	v_mul_f64 v[84:85], v[191:192], s[36:37]
	v_fma_f64 v[179:180], v[128:129], s[16:17], v[126:127]
	v_fma_f64 v[181:182], v[158:159], s[16:17], -v[152:153]
	v_mul_f64 v[130:131], v[187:188], s[40:41]
	v_mul_f64 v[160:161], v[191:192], s[40:41]
	v_add_f64 v[108:109], v[164:165], v[108:109]
	v_add_f64 v[110:111], v[171:172], v[110:111]
	v_fma_f64 v[183:184], v[128:129], s[4:5], v[154:155]
	v_fma_f64 v[185:186], v[158:159], s[4:5], -v[169:170]
	v_mul_f64 v[165:166], v[187:188], s[38:39]
	v_mul_f64 v[171:172], v[191:192], s[38:39]
	v_fma_f64 v[175:176], v[173:174], s[34:35], v[82:83]
	v_fma_f64 v[177:178], v[189:190], s[34:35], -v[84:85]
	v_add_f64 v[106:107], v[179:180], v[106:107]
	v_add_f64 v[104:105], v[181:182], v[104:105]
	v_fma_f64 v[179:180], v[173:174], s[6:7], v[130:131]
	v_fma_f64 v[181:182], v[189:190], s[6:7], -v[160:161]
	v_add_f64 v[183:184], v[183:184], v[108:109]
	v_add_f64 v[185:186], v[185:186], v[110:111]
	;; [unrolled: 4-line block ×3, first 2 shown]
	v_add_f64 v[108:109], v[179:180], v[106:107]
	v_add_f64 v[110:111], v[181:182], v[104:105]
	v_mul_lo_u16_e32 v0, 13, v203
	v_add_f64 v[104:105], v[193:194], v[183:184]
	v_add_f64 v[106:107], v[195:196], v[185:186]
	s_barrier
	buffer_store_dword v0, off, s[52:55], 0 ; 4-byte Folded Spill
	s_and_saveexec_b64 s[20:21], s[0:1]
	s_cbranch_execz .LBB0_7
; %bb.6:
	v_mov_b32_e32 v2, v203
	v_mul_f64 v[203:204], v[94:95], s[34:35]
	s_mov_b32 s47, 0x3fcea1e5
	s_mov_b32 s46, s36
	v_mul_f64 v[205:206], v[122:123], s[6:7]
	v_mul_f64 v[211:212], v[86:87], s[36:37]
	buffer_store_dword v215, off, s[52:55], 0 offset:4 ; 4-byte Folded Spill
	s_nop 0
	buffer_store_dword v216, off, s[52:55], 0 offset:8 ; 4-byte Folded Spill
	buffer_store_dword v217, off, s[52:55], 0 offset:12 ; 4-byte Folded Spill
	;; [unrolled: 1-line block ×3, first 2 shown]
	v_mul_f64 v[217:218], v[132:133], s[28:29]
	v_mul_f64 v[231:232], v[100:101], s[40:41]
	v_fma_f64 v[207:208], v[78:79], s[46:47], v[203:204]
	v_mul_f64 v[215:216], v[134:135], s[4:5]
	v_mul_f64 v[243:244], v[124:125], s[38:39]
	v_fma_f64 v[229:230], v[90:91], s[18:19], v[205:206]
	v_fma_f64 v[235:236], v[74:75], s[34:35], v[211:212]
	;; [unrolled: 1-line block ×4, first 2 shown]
	v_fma_f64 v[211:212], v[74:75], s[34:35], -v[211:212]
	v_add_f64 v[207:208], v[6:7], v[207:208]
	s_mov_b32 s49, 0x3fea55e2
	s_mov_b32 s48, s10
	v_mul_f64 v[213:214], v[158:159], s[24:25]
	v_add_f64 v[235:236], v[4:5], v[235:236]
	v_fma_f64 v[239:240], v[120:121], s[10:11], v[215:216]
	v_mul_f64 v[245:246], v[136:137], s[48:49]
	v_fma_f64 v[247:248], v[98:99], s[28:29], v[243:244]
	v_add_f64 v[207:208], v[229:230], v[207:208]
	v_fma_f64 v[229:230], v[80:81], s[6:7], v[231:232]
	v_fma_f64 v[205:206], v[90:91], s[40:41], v[205:206]
	v_add_f64 v[203:204], v[6:7], v[203:204]
	v_fma_f64 v[231:232], v[80:81], s[6:7], -v[231:232]
	v_add_f64 v[211:212], v[4:5], v[211:212]
	v_mov_b32_e32 v1, v209
	v_mul_f64 v[209:210], v[189:190], s[16:17]
	v_add_f64 v[207:208], v[241:242], v[207:208]
	v_add_f64 v[229:230], v[229:230], v[235:236]
	v_fma_f64 v[237:238], v[156:157], s[44:45], v[213:214]
	v_mul_f64 v[235:236], v[140:141], s[26:27]
	v_fma_f64 v[241:242], v[102:103], s[4:5], v[245:246]
	v_fma_f64 v[217:218], v[112:113], s[38:39], v[217:218]
	v_add_f64 v[203:204], v[205:206], v[203:204]
	v_fma_f64 v[243:244], v[98:99], s[28:29], -v[243:244]
	v_add_f64 v[207:208], v[239:240], v[207:208]
	v_add_f64 v[205:206], v[247:248], v[229:230]
	;; [unrolled: 1-line block ×3, first 2 shown]
	v_fma_f64 v[233:234], v[191:192], s[22:23], v[209:210]
	v_mul_f64 v[229:230], v[187:188], s[42:43]
	v_fma_f64 v[239:240], v[128:129], s[24:25], v[235:236]
	v_fma_f64 v[215:216], v[120:121], s[48:49], v[215:216]
	v_add_f64 v[203:204], v[217:218], v[203:204]
	v_add_f64 v[207:208], v[237:238], v[207:208]
	;; [unrolled: 1-line block ×3, first 2 shown]
	v_fma_f64 v[237:238], v[102:103], s[4:5], -v[245:246]
	v_add_f64 v[211:212], v[243:244], v[211:212]
	v_fma_f64 v[217:218], v[173:174], s[16:17], v[229:230]
	v_fma_f64 v[213:214], v[156:157], s[26:27], v[213:214]
	v_fma_f64 v[229:230], v[173:174], s[16:17], -v[229:230]
	v_add_f64 v[203:204], v[215:216], v[203:204]
	v_mul_f64 v[243:244], v[124:125], s[10:11]
	v_add_f64 v[215:216], v[239:240], v[205:206]
	v_add_f64 v[205:206], v[233:234], v[207:208]
	v_mul_f64 v[233:234], v[94:95], s[28:29]
	v_fma_f64 v[207:208], v[191:192], s[42:43], v[209:210]
	v_fma_f64 v[209:210], v[128:129], s[24:25], -v[235:236]
	v_mul_f64 v[235:236], v[86:87], s[38:39]
	v_add_f64 v[211:212], v[237:238], v[211:212]
	v_add_f64 v[213:214], v[213:214], v[203:204]
	v_add_f64 v[203:204], v[217:218], v[215:216]
	v_mul_f64 v[215:216], v[122:123], s[16:17]
	v_fma_f64 v[217:218], v[78:79], s[30:31], v[233:234]
	v_mul_f64 v[237:238], v[100:101], s[42:43]
	v_fma_f64 v[247:248], v[98:99], s[4:5], v[243:244]
	v_fma_f64 v[239:240], v[74:75], s[28:29], v[235:236]
	v_add_f64 v[211:212], v[209:210], v[211:212]
	v_add_f64 v[209:210], v[207:208], v[213:214]
	v_mul_f64 v[213:214], v[132:133], s[4:5]
	v_fma_f64 v[241:242], v[90:91], s[22:23], v[215:216]
	v_add_f64 v[217:218], v[6:7], v[217:218]
	v_fma_f64 v[245:246], v[80:81], s[16:17], v[237:238]
	v_fma_f64 v[215:216], v[90:91], s[42:43], v[215:216]
	v_add_f64 v[239:240], v[4:5], v[239:240]
	v_add_f64 v[207:208], v[229:230], v[211:212]
	v_fma_f64 v[229:230], v[78:79], s[38:39], v[233:234]
	v_mul_f64 v[211:212], v[134:135], s[34:35]
	v_fma_f64 v[233:234], v[112:113], s[48:49], v[213:214]
	v_add_f64 v[217:218], v[241:242], v[217:218]
	v_mul_f64 v[241:242], v[158:159], s[6:7]
	v_fma_f64 v[235:236], v[74:75], s[28:29], -v[235:236]
	v_add_f64 v[239:240], v[245:246], v[239:240]
	v_mul_f64 v[245:246], v[136:137], s[46:47]
	v_add_f64 v[229:230], v[6:7], v[229:230]
	v_fma_f64 v[249:250], v[120:121], s[36:37], v[211:212]
	v_fma_f64 v[213:214], v[112:113], s[10:11], v[213:214]
	v_add_f64 v[217:218], v[233:234], v[217:218]
	v_mul_f64 v[233:234], v[140:141], s[40:41]
	v_fma_f64 v[237:238], v[80:81], s[16:17], -v[237:238]
	v_add_f64 v[239:240], v[247:248], v[239:240]
	v_fma_f64 v[247:248], v[102:103], s[34:35], v[245:246]
	v_add_f64 v[215:216], v[215:216], v[229:230]
	v_mul_f64 v[229:230], v[189:190], s[24:25]
	v_add_f64 v[235:236], v[4:5], v[235:236]
	v_add_f64 v[217:218], v[249:250], v[217:218]
	v_fma_f64 v[249:250], v[156:157], s[18:19], v[241:242]
	v_mul_f64 v[183:184], v[94:95], s[6:7]
	v_mul_f64 v[219:220], v[94:95], s[4:5]
	v_add_f64 v[239:240], v[247:248], v[239:240]
	v_fma_f64 v[247:248], v[128:129], s[6:7], v[233:234]
	v_add_f64 v[213:214], v[213:214], v[215:216]
	v_mul_f64 v[215:216], v[187:188], s[26:27]
	v_mul_f64 v[221:222], v[94:95], s[16:17]
	v_fma_f64 v[211:212], v[120:121], s[46:47], v[211:212]
	v_fma_f64 v[243:244], v[98:99], s[4:5], -v[243:244]
	v_add_f64 v[235:236], v[237:238], v[235:236]
	v_add_f64 v[217:218], v[249:250], v[217:218]
	v_fma_f64 v[249:250], v[191:192], s[44:45], v[229:230]
	v_add_f64 v[239:240], v[247:248], v[239:240]
	v_fma_f64 v[247:248], v[173:174], s[24:25], v[215:216]
	v_mul_f64 v[94:95], v[94:95], s[24:25]
	v_mul_f64 v[181:182], v[122:123], s[4:5]
	;; [unrolled: 1-line block ×4, first 2 shown]
	v_add_f64 v[251:252], v[211:212], v[213:214]
	v_add_f64 v[235:236], v[243:244], v[235:236]
	;; [unrolled: 1-line block ×3, first 2 shown]
	v_fma_f64 v[217:218], v[102:103], s[34:35], -v[245:246]
	v_fma_f64 v[241:242], v[156:157], s[40:41], v[241:242]
	v_add_f64 v[211:212], v[247:248], v[239:240]
	v_mul_f64 v[122:123], v[122:123], s[28:29]
	v_mul_f64 v[86:87], v[86:87], s[26:27]
	v_fma_f64 v[239:240], v[78:79], s[44:45], v[94:95]
	v_fma_f64 v[78:79], v[78:79], s[26:27], v[94:95]
	v_mul_f64 v[197:198], v[132:133], s[16:17]
	v_mul_f64 v[237:238], v[132:133], s[34:35]
	;; [unrolled: 1-line block ×3, first 2 shown]
	v_fma_f64 v[229:230], v[191:192], s[26:27], v[229:230]
	v_fma_f64 v[233:234], v[128:129], s[6:7], -v[233:234]
	v_add_f64 v[217:218], v[217:218], v[235:236]
	v_add_f64 v[235:236], v[241:242], v[251:252]
	v_fma_f64 v[241:242], v[90:91], s[38:39], v[122:123]
	v_mul_f64 v[100:101], v[100:101], s[30:31]
	v_fma_f64 v[245:246], v[74:75], s[24:25], v[86:87]
	v_add_f64 v[239:240], v[6:7], v[239:240]
	v_mul_f64 v[132:133], v[132:133], s[6:7]
	v_fma_f64 v[90:91], v[90:91], s[30:31], v[122:123]
	v_add_f64 v[78:79], v[6:7], v[78:79]
	v_mul_f64 v[175:176], v[74:75], s[6:7]
	v_mul_f64 v[177:178], v[74:75], s[4:5]
	;; [unrolled: 1-line block ×3, first 2 shown]
	v_add_f64 v[233:234], v[233:234], v[217:218]
	v_add_f64 v[217:218], v[229:230], v[235:236]
	v_mul_f64 v[229:230], v[134:135], s[16:17]
	v_mul_f64 v[124:125], v[124:125], s[40:41]
	v_fma_f64 v[235:236], v[80:81], s[28:29], v[100:101]
	v_add_f64 v[245:246], v[4:5], v[245:246]
	v_add_f64 v[239:240], v[241:242], v[239:240]
	v_fma_f64 v[241:242], v[112:113], s[18:19], v[132:133]
	v_fma_f64 v[112:113], v[112:113], s[40:41], v[132:133]
	v_add_f64 v[78:79], v[90:91], v[78:79]
	v_fma_f64 v[74:75], v[74:75], s[24:25], -v[86:87]
	v_mul_f64 v[179:180], v[80:81], s[4:5]
	v_mul_f64 v[185:186], v[80:81], s[24:25]
	;; [unrolled: 1-line block ×3, first 2 shown]
	v_fma_f64 v[247:248], v[120:121], s[42:43], v[229:230]
	v_fma_f64 v[94:95], v[98:99], s[6:7], v[124:125]
	v_add_f64 v[235:236], v[235:236], v[245:246]
	v_mul_f64 v[136:137], v[136:137], s[22:23]
	v_mul_f64 v[90:91], v[158:159], s[34:35]
	v_fma_f64 v[120:121], v[120:121], s[22:23], v[229:230]
	v_add_f64 v[78:79], v[112:113], v[78:79]
	v_fma_f64 v[80:81], v[80:81], s[28:29], -v[100:101]
	v_add_f64 v[74:75], v[4:5], v[74:75]
	v_mul_f64 v[193:194], v[98:99], s[16:17]
	v_mul_f64 v[231:232], v[98:99], s[34:35]
	;; [unrolled: 1-line block ×3, first 2 shown]
	v_fma_f64 v[215:216], v[173:174], s[24:25], -v[215:216]
	v_add_f64 v[239:240], v[241:242], v[239:240]
	v_add_f64 v[94:95], v[94:95], v[235:236]
	v_fma_f64 v[235:236], v[102:103], s[16:17], v[136:137]
	v_fma_f64 v[112:113], v[156:157], s[36:37], v[90:91]
	;; [unrolled: 1-line block ×3, first 2 shown]
	v_mul_f64 v[100:101], v[189:190], s[4:5]
	v_add_f64 v[78:79], v[120:121], v[78:79]
	v_mul_f64 v[140:141], v[140:141], s[46:47]
	v_fma_f64 v[98:99], v[98:99], s[6:7], -v[124:125]
	v_add_f64 v[74:75], v[80:81], v[74:75]
	v_add_f64 v[215:216], v[215:216], v[233:234]
	v_mul_f64 v[233:234], v[102:103], s[24:25]
	v_mul_f64 v[245:246], v[102:103], s[28:29]
	v_add_f64 v[239:240], v[247:248], v[239:240]
	v_mul_f64 v[247:248], v[102:103], s[6:7]
	v_add_f64 v[94:95], v[235:236], v[94:95]
	v_fma_f64 v[80:81], v[191:192], s[10:11], v[100:101]
	v_fma_f64 v[100:101], v[191:192], s[48:49], v[100:101]
	v_add_f64 v[78:79], v[90:91], v[78:79]
	v_fma_f64 v[90:91], v[128:129], s[34:35], v[140:141]
	v_fma_f64 v[102:103], v[102:103], s[16:17], -v[136:137]
	v_add_f64 v[74:75], v[98:99], v[74:75]
	v_add_f64 v[199:200], v[199:200], v[221:222]
	;; [unrolled: 1-line block ×4, first 2 shown]
	v_mul_f64 v[241:242], v[134:135], s[24:25]
	v_mul_f64 v[122:123], v[134:135], s[28:29]
	v_add_f64 v[90:91], v[90:91], v[94:95]
	v_fma_f64 v[94:95], v[128:129], s[34:35], -v[140:141]
	v_add_f64 v[102:103], v[102:103], v[74:75]
	v_add_f64 v[74:75], v[100:101], v[78:79]
	;; [unrolled: 1-line block ×7, first 2 shown]
	v_mul_f64 v[134:135], v[134:135], s[6:7]
	v_add_f64 v[94:95], v[94:95], v[102:103]
	v_add_f64 v[102:103], v[162:163], v[243:244]
	v_add_f64 v[142:143], v[195:196], -v[142:143]
	v_add_f64 v[78:79], v[78:79], v[100:101]
	v_add_f64 v[100:101], v[116:117], v[223:224]
	;; [unrolled: 1-line block ×3, first 2 shown]
	buffer_load_dword v0, off, s[52:55], 0  ; 4-byte Folded Reload
	v_add_f64 v[10:11], v[10:11], v[18:19]
	v_add_f64 v[8:9], v[8:9], v[16:17]
	v_mul_f64 v[235:236], v[158:159], s[28:29]
	v_mul_f64 v[229:230], v[158:159], s[16:17]
	;; [unrolled: 1-line block ×3, first 2 shown]
	v_add_f64 v[12:13], v[167:168], v[134:135]
	v_add_f64 v[14:15], v[225:226], -v[144:145]
	v_add_f64 v[134:135], v[4:5], v[142:143]
	v_add_f64 v[78:79], v[102:103], v[78:79]
	;; [unrolled: 1-line block ×7, first 2 shown]
	v_add_f64 v[18:19], v[253:254], -v[146:147]
	v_add_f64 v[14:15], v[14:15], v[134:135]
	v_add_f64 v[12:13], v[12:13], v[78:79]
	;; [unrolled: 1-line block ×7, first 2 shown]
	v_mul_f64 v[132:133], v[128:129], s[28:29]
	v_add_f64 v[14:15], v[18:19], v[14:15]
	v_add_f64 v[12:13], v[16:17], v[12:13]
	;; [unrolled: 1-line block ×6, first 2 shown]
	v_add_f64 v[28:29], v[177:178], -v[88:89]
	v_add_f64 v[6:7], v[6:7], v[58:59]
	v_add_f64 v[58:59], v[179:180], -v[60:61]
	v_add_f64 v[30:31], v[185:186], -v[92:93]
	v_mul_f64 v[86:87], v[128:129], s[16:17]
	v_add_f64 v[16:17], v[16:17], v[18:19]
	v_add_f64 v[18:19], v[175:176], -v[56:57]
	v_add_f64 v[10:11], v[10:11], v[34:35]
	v_add_f64 v[8:9], v[8:9], v[32:33]
	;; [unrolled: 1-line block ×4, first 2 shown]
	v_add_f64 v[34:35], v[193:194], -v[64:65]
	v_mul_f64 v[156:157], v[128:129], s[4:5]
	v_add_f64 v[22:23], v[247:248], -v[150:151]
	v_add_f64 v[18:19], v[4:5], v[18:19]
	v_add_f64 v[4:5], v[4:5], v[28:29]
	;; [unrolled: 1-line block ×5, first 2 shown]
	v_add_f64 v[28:29], v[231:232], -v[96:97]
	v_add_f64 v[36:37], v[70:71], v[241:242]
	v_mul_f64 v[136:137], v[189:190], s[6:7]
	v_add_f64 v[18:19], v[58:59], v[18:19]
	v_add_f64 v[4:5], v[30:31], v[4:5]
	;; [unrolled: 1-line block ×5, first 2 shown]
	v_add_f64 v[32:33], v[233:234], -v[68:69]
	v_add_f64 v[30:31], v[245:246], -v[114:115]
	v_mul_f64 v[120:121], v[173:174], s[34:35]
	v_add_f64 v[18:19], v[34:35], v[18:19]
	v_add_f64 v[4:5], v[28:29], v[4:5]
	;; [unrolled: 1-line block ×4, first 2 shown]
	v_mul_f64 v[124:125], v[189:190], s[34:35]
	v_mul_f64 v[189:190], v[189:190], s[28:29]
	v_add_f64 v[34:35], v[76:77], v[235:236]
	v_add_f64 v[6:7], v[36:37], v[6:7]
	v_add_f64 v[36:37], v[132:133], -v[72:73]
	v_add_f64 v[18:19], v[32:33], v[18:19]
	v_mul_f64 v[191:192], v[173:174], s[6:7]
	v_add_f64 v[28:29], v[86:87], -v[126:127]
	v_add_f64 v[4:5], v[30:31], v[4:5]
	v_mul_f64 v[98:99], v[173:174], s[28:29]
	;; [unrolled: 3-line block ×3, first 2 shown]
	v_add_f64 v[22:23], v[160:161], v[136:137]
	v_add_f64 v[40:41], v[10:11], v[50:51]
	;; [unrolled: 1-line block ×6, first 2 shown]
	v_add_f64 v[38:39], v[120:121], -v[82:83]
	v_add_f64 v[36:37], v[36:37], v[18:19]
	v_add_f64 v[30:31], v[191:192], -v[130:131]
	v_add_f64 v[4:5], v[28:29], v[4:5]
	;; [unrolled: 2-line block ×3, first 2 shown]
	v_fma_f64 v[128:129], v[173:174], s[4:5], -v[187:188]
	v_add_f64 v[10:11], v[22:23], v[16:17]
	v_add_f64 v[18:19], v[40:41], v[54:55]
	;; [unrolled: 1-line block ×9, first 2 shown]
	s_waitcnt vmcnt(0)
	v_lshlrev_b32_e32 v0, 4, v0
	ds_write_b128 v0, v[16:19]
	ds_write_b128 v0, v[12:15] offset:16
	ds_write_b128 v0, v[8:11] offset:32
	ds_write_b128 v0, v[4:7] offset:48
	ds_write_b128 v0, v[72:75] offset:64
	ds_write_b128 v0, v[215:218] offset:80
	buffer_load_dword v215, off, s[52:55], 0 offset:4 ; 4-byte Folded Reload
	buffer_load_dword v216, off, s[52:55], 0 offset:8 ; 4-byte Folded Reload
	;; [unrolled: 1-line block ×4, first 2 shown]
	v_add_f64 v[112:113], v[112:113], v[239:240]
	v_fma_f64 v[221:222], v[173:174], s[4:5], v[187:188]
	ds_write_b128 v0, v[207:210] offset:96
	v_mov_b32_e32 v209, v1
	ds_write_b128 v0, v[203:206] offset:112
	v_mov_b32_e32 v203, v2
	v_add_f64 v[22:23], v[80:81], v[112:113]
	v_add_f64 v[20:21], v[221:222], v[90:91]
	ds_write_b128 v0, v[211:214] offset:128
	ds_write_b128 v0, v[20:23] offset:144
	;; [unrolled: 1-line block ×4, first 2 shown]
	s_waitcnt vmcnt(0)
	ds_write_b128 v0, v[215:218] offset:192
.LBB0_7:
	s_or_b64 exec, exec, s[20:21]
	s_load_dwordx4 s[4:7], s[2:3], 0x0
	s_movk_i32 s2, 0xc3
	v_add_co_u32_e32 v68, vcc, s2, v203
	v_addc_co_u32_e64 v69, s[2:3], 0, 0, vcc
	s_movk_i32 s2, 0x4f
	v_mul_lo_u16_sdwa v0, v203, s2 dst_sel:DWORD dst_unused:UNUSED_PAD src0_sel:BYTE_0 src1_sel:DWORD
	v_lshrrev_b16_e32 v0, 10, v0
	v_mul_lo_u16_e32 v1, 13, v0
	v_sub_u16_e32 v1, v203, v1
	v_and_b32_e32 v1, 0xff, v1
	v_lshlrev_b32_e32 v2, 6, v1
	s_movk_i32 s2, 0x4ec5
	s_waitcnt vmcnt(0) lgkmcnt(0)
	s_barrier
	global_load_dwordx4 v[231:234], v2, s[8:9] offset:48
	global_load_dwordx4 v[243:246], v2, s[8:9] offset:32
	;; [unrolled: 1-line block ×3, first 2 shown]
	global_load_dwordx4 v[247:250], v2, s[8:9]
	v_mul_u32_u24_sdwa v2, v68, s2 dst_sel:DWORD dst_unused:UNUSED_PAD src0_sel:WORD_0 src1_sel:DWORD
	v_lshrrev_b32_e32 v2, 18, v2
	v_mul_lo_u16_e32 v3, 13, v2
	v_sub_u16_e32 v3, v68, v3
	v_lshlrev_b16_e32 v4, 2, v3
	v_lshlrev_b32_e32 v4, 4, v4
	global_load_dwordx4 v[9:12], v4, s[8:9]
	global_load_dwordx4 v[5:8], v4, s[8:9] offset:16
	global_load_dwordx4 v[251:254], v4, s[8:9] offset:32
	;; [unrolled: 1-line block ×3, first 2 shown]
	v_mov_b32_e32 v4, 4
	v_lshlrev_b32_sdwa v164, v4, v203 dst_sel:DWORD dst_unused:UNUSED_PAD src0_sel:DWORD src1_sel:WORD_0
	ds_read_b128 v[36:39], v164
	ds_read_b128 v[40:43], v164 offset:3120
	ds_read_b128 v[44:47], v164 offset:6240
	;; [unrolled: 1-line block ×9, first 2 shown]
	s_mov_b32 s2, 0x134454ff
	s_mov_b32 s3, 0x3fee6f0e
	;; [unrolled: 1-line block ×10, first 2 shown]
	s_movk_i32 s22, 0x41
	v_mul_u32_u24_e32 v0, 0x41, v0
	v_add_lshl_u32 v183, v0, v1, 4
	v_mad_legacy_u16 v0, v2, s22, v3
	s_movk_i32 s23, 0xfd
	v_lshlrev_b32_e32 v204, 4, v0
	v_mul_lo_u16_sdwa v0, v203, s23 dst_sel:DWORD dst_unused:UNUSED_PAD src0_sel:BYTE_0 src1_sel:DWORD
	v_lshrrev_b16_e32 v0, 14, v0
	v_mul_lo_u16_e32 v1, 0x41, v0
	v_sub_u16_e32 v1, v203, v1
	v_and_b32_e32 v1, 0xff, v1
	s_movk_i32 s23, 0x90
	v_mul_u32_u24_e32 v0, 0x28a, v0
	v_add_lshl_u32 v199, v0, v1, 4
	s_waitcnt vmcnt(7) lgkmcnt(1)
	v_mul_f64 v[90:91], v[72:73], v[233:234]
	s_waitcnt vmcnt(6)
	v_mul_f64 v[86:87], v[62:63], v[245:246]
	s_waitcnt vmcnt(5)
	v_mul_f64 v[82:83], v[54:55], v[26:27]
	s_waitcnt vmcnt(4)
	v_mul_f64 v[78:79], v[46:47], v[249:250]
	v_mul_f64 v[80:81], v[44:45], v[249:250]
	v_mul_f64 v[84:85], v[52:53], v[26:27]
	v_mul_f64 v[88:89], v[60:61], v[245:246]
	s_waitcnt vmcnt(3)
	v_mul_f64 v[94:95], v[50:51], v[11:12]
	v_mul_f64 v[96:97], v[48:49], v[11:12]
	s_waitcnt vmcnt(2)
	v_mul_f64 v[98:99], v[58:59], v[7:8]
	v_mul_f64 v[100:101], v[56:57], v[7:8]
	v_fma_f64 v[44:45], v[44:45], v[247:248], -v[78:79]
	v_fma_f64 v[52:53], v[52:53], v[24:25], -v[82:83]
	v_mul_f64 v[92:93], v[70:71], v[233:234]
	v_fma_f64 v[60:61], v[60:61], v[243:244], -v[86:87]
	v_fma_f64 v[78:79], v[48:49], v[9:10], -v[94:95]
	buffer_store_dword v9, off, s[52:55], 0 offset:20 ; 4-byte Folded Spill
	s_nop 0
	buffer_store_dword v10, off, s[52:55], 0 offset:24 ; 4-byte Folded Spill
	buffer_store_dword v11, off, s[52:55], 0 offset:28 ; 4-byte Folded Spill
	;; [unrolled: 1-line block ×3, first 2 shown]
	v_fma_f64 v[82:83], v[56:57], v[5:6], -v[98:99]
	buffer_store_dword v5, off, s[52:55], 0 offset:4 ; 4-byte Folded Spill
	s_nop 0
	buffer_store_dword v6, off, s[52:55], 0 offset:8 ; 4-byte Folded Spill
	buffer_store_dword v7, off, s[52:55], 0 offset:12 ; 4-byte Folded Spill
	;; [unrolled: 1-line block ×3, first 2 shown]
	v_fma_f64 v[70:71], v[70:71], v[231:232], -v[90:91]
	s_waitcnt vmcnt(9)
	v_mul_f64 v[112:113], v[64:65], v[253:254]
	s_waitcnt vmcnt(8) lgkmcnt(0)
	v_mul_f64 v[114:115], v[76:77], v[239:240]
	v_fma_f64 v[46:47], v[46:47], v[247:248], v[80:81]
	v_fma_f64 v[54:55], v[54:55], v[24:25], v[84:85]
	;; [unrolled: 1-line block ×4, first 2 shown]
	v_mul_f64 v[102:103], v[66:67], v[253:254]
	v_add_f64 v[90:91], v[44:45], v[70:71]
	v_mul_f64 v[116:117], v[74:75], v[239:240]
	v_fma_f64 v[66:67], v[66:67], v[251:252], v[112:113]
	v_fma_f64 v[74:75], v[74:75], v[237:238], -v[114:115]
	v_add_f64 v[48:49], v[36:37], v[44:45]
	v_add_f64 v[86:87], v[44:45], -v[52:53]
	v_add_f64 v[56:57], v[46:47], -v[72:73]
	;; [unrolled: 1-line block ×5, first 2 shown]
	v_add_f64 v[98:99], v[54:55], v[62:63]
	v_add_f64 v[112:113], v[72:73], -v[62:63]
	v_add_f64 v[114:115], v[46:47], v[72:73]
	v_fma_f64 v[64:65], v[64:65], v[251:252], -v[102:103]
	v_add_f64 v[102:103], v[52:53], -v[60:61]
	v_add_f64 v[48:49], v[48:49], v[52:53]
	v_fma_f64 v[76:77], v[76:77], v[237:238], v[116:117]
	v_add_f64 v[116:117], v[62:63], -v[72:73]
	v_add_f64 v[118:119], v[40:41], v[78:79]
	s_waitcnt vmcnt(0)
	s_barrier
	v_add_f64 v[120:121], v[82:83], v[64:65]
	v_add_f64 v[48:49], v[48:49], v[60:61]
	v_fma_f64 v[80:81], v[50:51], v[9:10], v[96:97]
	v_add_f64 v[50:51], v[52:53], v[60:61]
	v_fma_f64 v[84:85], v[58:59], v[5:6], v[100:101]
	v_add_f64 v[58:59], v[54:55], -v[62:63]
	v_add_f64 v[96:97], v[38:39], v[46:47]
	v_add_f64 v[100:101], v[44:45], -v[70:71]
	v_add_f64 v[44:45], v[46:47], -v[54:55]
	;; [unrolled: 1-line block ×3, first 2 shown]
	v_add_f64 v[52:53], v[86:87], v[88:89]
	v_fma_f64 v[50:51], v[50:51], -0.5, v[36:37]
	v_fma_f64 v[36:37], v[90:91], -0.5, v[36:37]
	v_add_f64 v[86:87], v[92:93], v[94:95]
	v_add_f64 v[54:55], v[96:97], v[54:55]
	v_fma_f64 v[88:89], v[98:99], -0.5, v[38:39]
	v_add_f64 v[90:91], v[44:45], v[112:113]
	v_fma_f64 v[92:93], v[114:115], -0.5, v[38:39]
	v_add_f64 v[122:123], v[80:81], -v[76:77]
	v_fma_f64 v[38:39], v[56:57], s[2:3], v[50:51]
	v_fma_f64 v[44:45], v[56:57], s[18:19], v[50:51]
	;; [unrolled: 1-line block ×4, first 2 shown]
	v_add_f64 v[54:55], v[54:55], v[62:63]
	v_fma_f64 v[60:61], v[100:101], s[18:19], v[88:89]
	v_fma_f64 v[62:63], v[100:101], s[2:3], v[88:89]
	;; [unrolled: 1-line block ×7, first 2 shown]
	v_add_f64 v[36:37], v[48:49], v[70:71]
	v_add_f64 v[38:39], v[54:55], v[72:73]
	v_add_f64 v[72:73], v[78:79], -v[82:83]
	v_fma_f64 v[62:63], v[102:103], s[10:11], v[62:63]
	v_fma_f64 v[44:45], v[52:53], s[16:17], v[88:89]
	v_fma_f64 v[48:49], v[52:53], s[16:17], v[58:59]
	v_fma_f64 v[52:53], v[86:87], s[16:17], v[50:51]
	v_fma_f64 v[50:51], v[102:103], s[18:19], v[92:93]
	v_fma_f64 v[56:57], v[86:87], s[16:17], v[56:57]
	v_add_f64 v[58:59], v[118:119], v[82:83]
	v_add_f64 v[86:87], v[74:75], -v[64:65]
	v_add_f64 v[88:89], v[78:79], v[74:75]
	v_fma_f64 v[94:95], v[120:121], -0.5, v[40:41]
	v_fma_f64 v[92:93], v[100:101], s[20:21], v[96:97]
	v_add_f64 v[96:97], v[46:47], v[116:117]
	v_fma_f64 v[98:99], v[100:101], s[10:11], v[50:51]
	v_fma_f64 v[54:55], v[102:103], s[20:21], v[60:61]
	v_add_f64 v[70:71], v[84:85], -v[66:67]
	v_add_f64 v[100:101], v[58:59], v[64:65]
	v_add_f64 v[72:73], v[72:73], v[86:87]
	v_fma_f64 v[86:87], v[88:89], -0.5, v[40:41]
	v_fma_f64 v[50:51], v[90:91], s[16:17], v[62:63]
	v_add_f64 v[62:63], v[84:85], v[66:67]
	v_fma_f64 v[60:61], v[122:123], s[2:3], v[94:95]
	v_fma_f64 v[88:89], v[122:123], s[18:19], v[94:95]
	v_add_f64 v[94:95], v[80:81], v[76:77]
	v_fma_f64 v[58:59], v[96:97], s[16:17], v[98:99]
	v_add_f64 v[98:99], v[42:43], v[80:81]
	v_fma_f64 v[46:47], v[90:91], s[16:17], v[54:55]
	v_fma_f64 v[54:55], v[96:97], s[16:17], v[92:93]
	v_add_f64 v[40:41], v[100:101], v[74:75]
	v_fma_f64 v[90:91], v[70:71], s[18:19], v[86:87]
	v_add_f64 v[92:93], v[82:83], -v[78:79]
	v_add_f64 v[96:97], v[64:65], -v[74:75]
	v_fma_f64 v[62:63], v[62:63], -0.5, v[42:43]
	v_add_f64 v[74:75], v[78:79], -v[74:75]
	v_add_f64 v[64:65], v[82:83], -v[64:65]
	v_fma_f64 v[42:43], v[94:95], -0.5, v[42:43]
	v_fma_f64 v[60:61], v[70:71], s[10:11], v[60:61]
	v_fma_f64 v[78:79], v[70:71], s[20:21], v[88:89]
	;; [unrolled: 1-line block ×3, first 2 shown]
	v_add_f64 v[86:87], v[98:99], v[84:85]
	v_fma_f64 v[88:89], v[122:123], s[10:11], v[90:91]
	v_add_f64 v[82:83], v[92:93], v[96:97]
	v_fma_f64 v[90:91], v[74:75], s[18:19], v[62:63]
	v_add_f64 v[92:93], v[80:81], -v[84:85]
	v_add_f64 v[94:95], v[76:77], -v[66:67]
	v_fma_f64 v[96:97], v[64:65], s[2:3], v[42:43]
	v_add_f64 v[80:81], v[84:85], -v[80:81]
	v_add_f64 v[84:85], v[66:67], -v[76:77]
	v_fma_f64 v[42:43], v[64:65], s[18:19], v[42:43]
	v_fma_f64 v[62:63], v[74:75], s[2:3], v[62:63]
	v_add_f64 v[66:67], v[86:87], v[66:67]
	v_fma_f64 v[86:87], v[64:65], s[20:21], v[90:91]
	v_add_f64 v[90:91], v[92:93], v[94:95]
	v_fma_f64 v[94:95], v[74:75], s[20:21], v[96:97]
	v_fma_f64 v[98:99], v[122:123], s[20:21], v[70:71]
	v_add_f64 v[80:81], v[80:81], v[84:85]
	v_fma_f64 v[84:85], v[74:75], s[10:11], v[42:43]
	;; [unrolled: 3-line block ×3, first 2 shown]
	v_fma_f64 v[62:63], v[90:91], s[16:17], v[86:87]
	v_fma_f64 v[64:65], v[72:73], s[16:17], v[78:79]
	;; [unrolled: 1-line block ×7, first 2 shown]
	ds_write_b128 v183, v[36:39]
	ds_write_b128 v183, v[44:47] offset:208
	ds_write_b128 v183, v[52:55] offset:416
	;; [unrolled: 1-line block ×4, first 2 shown]
	v_mov_b32_e32 v37, s9
	v_mov_b32_e32 v36, s8
	ds_write_b128 v204, v[40:43]
	ds_write_b128 v204, v[60:63] offset:208
	ds_write_b128 v204, v[70:73] offset:416
	;; [unrolled: 1-line block ×4, first 2 shown]
	v_mad_u64_u32 v[70:71], s[24:25], v1, s23, v[36:37]
	s_waitcnt lgkmcnt(0)
	s_barrier
	global_load_dwordx4 v[10:13], v[70:71], off offset:832
	global_load_dwordx4 v[2:5], v[70:71], off offset:880
	;; [unrolled: 1-line block ×9, first 2 shown]
	ds_read_b128 v[70:73], v164 offset:3120
	ds_read_b128 v[80:83], v164
	ds_read_b128 v[84:87], v164 offset:6240
	ds_read_b128 v[88:91], v164 offset:9360
	;; [unrolled: 1-line block ×8, first 2 shown]
	s_mov_b32 s24, 0x9b97f4a8
	s_mov_b32 s25, 0x3fe9e377
	s_waitcnt vmcnt(8) lgkmcnt(9)
	v_mul_f64 v[74:75], v[72:73], v[12:13]
	s_waitcnt vmcnt(7) lgkmcnt(5)
	v_mul_f64 v[124:125], v[94:95], v[4:5]
	;; [unrolled: 2-line block ×3, first 2 shown]
	s_waitcnt vmcnt(5)
	v_mul_f64 v[128:129], v[86:87], v[78:79]
	v_mul_f64 v[130:131], v[84:85], v[78:79]
	s_waitcnt vmcnt(4)
	v_mul_f64 v[132:133], v[90:91], v[66:67]
	v_mul_f64 v[134:135], v[88:89], v[66:67]
	s_waitcnt vmcnt(3) lgkmcnt(1)
	v_mul_f64 v[136:137], v[116:117], v[16:17]
	v_fma_f64 v[74:75], v[70:71], v[10:11], -v[74:75]
	v_mul_f64 v[70:71], v[70:71], v[12:13]
	v_fma_f64 v[124:125], v[92:93], v[2:3], -v[124:125]
	v_mul_f64 v[92:93], v[92:93], v[4:5]
	buffer_store_dword v10, off, s[52:55], 0 offset:68 ; 4-byte Folded Spill
	s_nop 0
	buffer_store_dword v11, off, s[52:55], 0 offset:72 ; 4-byte Folded Spill
	buffer_store_dword v12, off, s[52:55], 0 offset:76 ; 4-byte Folded Spill
	;; [unrolled: 1-line block ×4, first 2 shown]
	s_nop 0
	buffer_store_dword v3, off, s[52:55], 0 offset:40 ; 4-byte Folded Spill
	buffer_store_dword v4, off, s[52:55], 0 offset:44 ; 4-byte Folded Spill
	;; [unrolled: 1-line block ×3, first 2 shown]
	v_fma_f64 v[126:127], v[100:101], v[6:7], -v[126:127]
	v_mul_f64 v[100:101], v[100:101], v[8:9]
	buffer_store_dword v6, off, s[52:55], 0 offset:52 ; 4-byte Folded Spill
	s_nop 0
	buffer_store_dword v7, off, s[52:55], 0 offset:56 ; 4-byte Folded Spill
	buffer_store_dword v8, off, s[52:55], 0 offset:60 ; 4-byte Folded Spill
	;; [unrolled: 1-line block ×3, first 2 shown]
	s_waitcnt vmcnt(12) lgkmcnt(0)
	v_mul_f64 v[138:139], v[122:123], v[62:63]
	v_mul_f64 v[142:143], v[120:121], v[62:63]
	v_fma_f64 v[120:121], v[120:121], v[60:61], -v[138:139]
	v_fma_f64 v[122:123], v[122:123], v[60:61], v[142:143]
	v_fma_f64 v[70:71], v[72:73], v[10:11], v[70:71]
	v_fma_f64 v[72:73], v[84:85], v[76:77], -v[128:129]
	v_fma_f64 v[84:85], v[86:87], v[76:77], v[130:131]
	v_fma_f64 v[86:87], v[88:89], v[64:65], -v[132:133]
	v_fma_f64 v[88:89], v[90:91], v[64:65], v[134:135]
	v_fma_f64 v[90:91], v[94:95], v[2:3], v[92:93]
	;; [unrolled: 1-line block ×3, first 2 shown]
	v_mul_f64 v[118:119], v[118:119], v[16:17]
	buffer_store_dword v14, off, s[52:55], 0 offset:84 ; 4-byte Folded Spill
	s_nop 0
	buffer_store_dword v15, off, s[52:55], 0 offset:88 ; 4-byte Folded Spill
	buffer_store_dword v16, off, s[52:55], 0 offset:92 ; 4-byte Folded Spill
	;; [unrolled: 1-line block ×3, first 2 shown]
	v_add_f64 v[92:93], v[124:125], v[126:127]
	v_add_f64 v[134:135], v[80:81], v[72:73]
	v_fma_f64 v[100:101], v[102:103], v[6:7], v[100:101]
	v_mul_f64 v[128:129], v[98:99], v[58:59]
	v_mul_f64 v[130:131], v[96:97], v[58:59]
	v_mul_f64 v[132:133], v[114:115], v[54:55]
	v_add_f64 v[136:137], v[84:85], -v[94:95]
	v_fma_f64 v[92:93], v[92:93], -0.5, v[80:81]
	s_waitcnt vmcnt(0)
	s_barrier
	v_add_f64 v[144:145], v[94:95], -v[100:101]
	v_fma_f64 v[96:97], v[96:97], v[56:57], -v[128:129]
	v_fma_f64 v[98:99], v[98:99], v[56:57], v[130:131]
	v_add_f64 v[130:131], v[90:91], -v[100:101]
	v_fma_f64 v[128:129], v[136:137], s[2:3], v[92:93]
	v_fma_f64 v[92:93], v[136:137], s[18:19], v[92:93]
	;; [unrolled: 1-line block ×4, first 2 shown]
	v_fma_f64 v[102:103], v[116:117], v[14:15], -v[118:119]
	v_add_f64 v[118:119], v[134:135], v[124:125]
	v_fma_f64 v[116:117], v[112:113], v[52:53], -v[132:133]
	v_mul_f64 v[112:113], v[112:113], v[54:55]
	v_add_f64 v[132:133], v[72:73], -v[124:125]
	v_add_f64 v[140:141], v[72:73], v[102:103]
	v_add_f64 v[134:135], v[102:103], -v[126:127]
	v_add_f64 v[118:119], v[118:119], v[126:127]
	v_fma_f64 v[112:113], v[114:115], v[52:53], v[112:113]
	v_add_f64 v[114:115], v[90:91], v[100:101]
	v_add_f64 v[138:139], v[72:73], -v[102:103]
	v_add_f64 v[72:73], v[124:125], -v[72:73]
	;; [unrolled: 1-line block ×3, first 2 shown]
	v_fma_f64 v[80:81], v[140:141], -0.5, v[80:81]
	v_add_f64 v[132:133], v[132:133], v[134:135]
	v_add_f64 v[118:119], v[118:119], v[102:103]
	v_add_f64 v[134:135], v[82:83], v[84:85]
	v_add_f64 v[102:103], v[126:127], -v[102:103]
	v_fma_f64 v[114:115], v[114:115], -0.5, v[82:83]
	v_add_f64 v[126:127], v[84:85], -v[90:91]
	v_fma_f64 v[140:141], v[130:131], s[18:19], v[80:81]
	v_fma_f64 v[80:81], v[130:131], s[2:3], v[80:81]
	;; [unrolled: 1-line block ×3, first 2 shown]
	v_add_f64 v[134:135], v[134:135], v[90:91]
	v_add_f64 v[72:73], v[72:73], v[102:103]
	v_add_f64 v[102:103], v[84:85], v[94:95]
	v_fma_f64 v[132:133], v[132:133], s[16:17], v[92:93]
	v_add_f64 v[92:93], v[96:97], v[116:117]
	v_fma_f64 v[130:131], v[136:137], s[10:11], v[140:141]
	v_fma_f64 v[80:81], v[136:137], s[20:21], v[80:81]
	;; [unrolled: 1-line block ×3, first 2 shown]
	v_add_f64 v[134:135], v[134:135], v[100:101]
	v_fma_f64 v[114:115], v[138:139], s[2:3], v[114:115]
	v_fma_f64 v[82:83], v[102:103], -0.5, v[82:83]
	v_add_f64 v[126:127], v[126:127], v[144:145]
	v_add_f64 v[84:85], v[90:91], -v[84:85]
	v_fma_f64 v[130:131], v[72:73], s[16:17], v[130:131]
	v_fma_f64 v[102:103], v[72:73], s[16:17], v[80:81]
	v_add_f64 v[72:73], v[74:75], v[86:87]
	v_fma_f64 v[80:81], v[92:93], -0.5, v[74:75]
	v_add_f64 v[92:93], v[88:89], -v[122:123]
	v_fma_f64 v[136:137], v[124:125], s[20:21], v[142:143]
	v_add_f64 v[134:135], v[134:135], v[94:95]
	v_fma_f64 v[114:115], v[124:125], s[10:11], v[114:115]
	v_fma_f64 v[140:141], v[124:125], s[2:3], v[82:83]
	v_add_f64 v[90:91], v[100:101], -v[94:95]
	v_fma_f64 v[82:83], v[124:125], s[18:19], v[82:83]
	v_add_f64 v[72:73], v[72:73], v[96:97]
	v_add_f64 v[94:95], v[86:87], v[120:121]
	v_fma_f64 v[100:101], v[92:93], s[2:3], v[80:81]
	v_add_f64 v[124:125], v[98:99], -v[112:113]
	v_add_f64 v[142:143], v[86:87], -v[96:97]
	v_add_f64 v[144:145], v[120:121], -v[116:117]
	v_fma_f64 v[140:141], v[138:139], s[20:21], v[140:141]
	v_add_f64 v[84:85], v[84:85], v[90:91]
	v_fma_f64 v[82:83], v[138:139], s[10:11], v[82:83]
	v_fma_f64 v[74:75], v[94:95], -0.5, v[74:75]
	v_add_f64 v[72:73], v[72:73], v[116:117]
	v_fma_f64 v[90:91], v[124:125], s[10:11], v[100:101]
	v_add_f64 v[100:101], v[98:99], v[112:113]
	v_add_f64 v[94:95], v[142:143], v[144:145]
	v_fma_f64 v[136:137], v[126:127], s[16:17], v[136:137]
	v_fma_f64 v[126:127], v[126:127], s[16:17], v[114:115]
	v_fma_f64 v[114:115], v[84:85], s[16:17], v[140:141]
	v_fma_f64 v[138:139], v[124:125], s[18:19], v[74:75]
	v_fma_f64 v[140:141], v[84:85], s[16:17], v[82:83]
	v_add_f64 v[142:143], v[72:73], v[120:121]
	v_add_f64 v[72:73], v[88:89], v[122:123]
	v_fma_f64 v[82:83], v[94:95], s[16:17], v[90:91]
	v_fma_f64 v[84:85], v[100:101], -0.5, v[70:71]
	v_add_f64 v[90:91], v[86:87], -v[120:121]
	v_fma_f64 v[80:81], v[92:93], s[18:19], v[80:81]
	v_fma_f64 v[100:101], v[92:93], s[10:11], v[138:139]
	v_add_f64 v[138:139], v[70:71], v[88:89]
	v_add_f64 v[144:145], v[96:97], -v[116:117]
	v_fma_f64 v[70:71], v[72:73], -0.5, v[70:71]
	v_add_f64 v[72:73], v[96:97], -v[86:87]
	v_add_f64 v[86:87], v[116:117], -v[120:121]
	v_fma_f64 v[96:97], v[90:91], s[18:19], v[84:85]
	v_add_f64 v[116:117], v[88:89], -v[98:99]
	v_add_f64 v[120:121], v[122:123], -v[112:113]
	v_fma_f64 v[80:81], v[124:125], s[20:21], v[80:81]
	v_fma_f64 v[74:75], v[124:125], s[2:3], v[74:75]
	v_add_f64 v[124:125], v[138:139], v[98:99]
	v_fma_f64 v[138:139], v[144:145], s[2:3], v[70:71]
	v_add_f64 v[88:89], v[98:99], -v[88:89]
	v_add_f64 v[98:99], v[112:113], -v[122:123]
	v_fma_f64 v[96:97], v[144:145], s[20:21], v[96:97]
	v_add_f64 v[116:117], v[116:117], v[120:121]
	v_fma_f64 v[70:71], v[144:145], s[18:19], v[70:71]
	v_fma_f64 v[84:85], v[90:91], s[2:3], v[84:85]
	v_add_f64 v[72:73], v[72:73], v[86:87]
	v_fma_f64 v[74:75], v[92:93], s[20:21], v[74:75]
	v_fma_f64 v[86:87], v[90:91], s[20:21], v[138:139]
	v_add_f64 v[88:89], v[88:89], v[98:99]
	v_add_f64 v[92:93], v[124:125], v[112:113]
	v_fma_f64 v[96:97], v[116:117], s[16:17], v[96:97]
	v_fma_f64 v[70:71], v[90:91], s[10:11], v[70:71]
	;; [unrolled: 1-line block ×7, first 2 shown]
	v_add_f64 v[98:99], v[92:93], v[122:123]
	v_mul_f64 v[86:87], v[96:97], s[10:11]
	v_fma_f64 v[88:89], v[88:89], s[16:17], v[70:71]
	v_fma_f64 v[84:85], v[116:117], s[16:17], v[84:85]
	v_mul_f64 v[100:101], v[90:91], s[24:25]
	v_add_f64 v[70:71], v[118:119], v[142:143]
	v_mul_f64 v[94:95], v[72:73], s[16:17]
	v_mul_f64 v[92:93], v[74:75], s[2:3]
	v_fma_f64 v[112:113], v[82:83], s[24:25], v[86:87]
	v_mul_f64 v[82:83], v[82:83], s[20:21]
	v_mul_f64 v[86:87], v[80:81], s[18:19]
	;; [unrolled: 1-line block ×4, first 2 shown]
	v_fma_f64 v[124:125], v[88:89], s[2:3], -v[94:95]
	v_fma_f64 v[122:123], v[80:81], s[16:17], v[92:93]
	v_fma_f64 v[138:139], v[84:85], s[10:11], -v[100:101]
	v_add_f64 v[80:81], v[128:129], v[112:113]
	v_fma_f64 v[144:145], v[96:97], s[24:25], v[82:83]
	v_fma_f64 v[74:75], v[74:75], s[16:17], v[86:87]
	v_fma_f64 v[146:147], v[72:73], s[18:19], -v[116:117]
	v_fma_f64 v[120:121], v[90:91], s[20:21], -v[120:121]
	v_add_f64 v[72:73], v[134:135], v[98:99]
	v_add_f64 v[84:85], v[130:131], v[122:123]
	;; [unrolled: 1-line block ×8, first 2 shown]
	v_add_f64 v[96:97], v[118:119], -v[142:143]
	v_add_f64 v[98:99], v[134:135], -v[98:99]
	;; [unrolled: 1-line block ×10, first 2 shown]
	ds_write_b128 v199, v[70:73]
	ds_write_b128 v199, v[80:83] offset:1040
	ds_write_b128 v199, v[84:87] offset:2080
	;; [unrolled: 1-line block ×9, first 2 shown]
	s_waitcnt lgkmcnt(0)
	s_barrier
	ds_read_b128 v[118:121], v164
	ds_read_b128 v[114:117], v164 offset:3120
	ds_read_b128 v[146:149], v164 offset:20800
	;; [unrolled: 1-line block ×8, first 2 shown]
	v_cmp_gt_u16_e64 s[2:3], s22, v203
	s_and_saveexec_b64 s[10:11], s[2:3]
	s_cbranch_execz .LBB0_9
; %bb.8:
	ds_read_b128 v[138:141], v164 offset:9360
	ds_read_b128 v[104:107], v164 offset:19760
	;; [unrolled: 1-line block ×3, first 2 shown]
.LBB0_9:
	s_or_b64 exec, exec, s[10:11]
	v_lshlrev_b32_e32 v0, 5, v203
	v_add_co_u32_e32 v1, vcc, 0x249, v203
	v_addc_co_u32_e64 v2, s[10:11], 0, 0, vcc
	v_mov_b32_e32 v3, s9
	v_add_co_u32_e32 v4, vcc, s8, v0
	v_addc_co_u32_e32 v5, vcc, 0, v3, vcc
	s_movk_i32 s9, 0x27d0
	v_add_co_u32_e32 v70, vcc, s9, v4
	v_addc_co_u32_e32 v71, vcc, 0, v5, vcc
	s_movk_i32 s16, 0x2000
	v_add_co_u32_e32 v72, vcc, s16, v4
	v_lshlrev_b64 v[68:69], 5, v[68:69]
	v_addc_co_u32_e32 v73, vcc, 0, v5, vcc
	v_add_co_u32_e32 v4, vcc, s8, v68
	v_addc_co_u32_e32 v5, vcc, v3, v69, vcc
	v_add_co_u32_e32 v68, vcc, s9, v4
	v_addc_co_u32_e32 v69, vcc, 0, v5, vcc
	global_load_dwordx4 v[80:83], v[72:73], off offset:2000
	global_load_dwordx4 v[84:87], v[70:71], off offset:16
	v_add_co_u32_e32 v70, vcc, s16, v4
	v_addc_co_u32_e32 v71, vcc, 0, v5, vcc
	v_add_u32_e32 v0, 0x30c0, v0
	v_add_co_u32_e32 v0, vcc, s8, v0
	v_addc_co_u32_e32 v4, vcc, 0, v3, vcc
	global_load_dwordx4 v[88:91], v[70:71], off offset:2000
	global_load_dwordx4 v[92:95], v[68:69], off offset:16
	v_add_co_u32_e32 v68, vcc, s9, v0
	v_addc_co_u32_e32 v69, vcc, 0, v4, vcc
	v_add_co_u32_e32 v70, vcc, s16, v0
	v_addc_co_u32_e32 v71, vcc, 0, v4, vcc
	s_movk_i32 s10, 0xffbf
	v_add_co_u32_e32 v0, vcc, s10, v203
	v_addc_co_u32_e64 v4, s[10:11], 0, -1, vcc
	global_load_dwordx4 v[100:103], v[70:71], off offset:2000
	global_load_dwordx4 v[96:99], v[68:69], off offset:16
	v_cndmask_b32_e64 v69, v4, v2, s[2:3]
	v_cndmask_b32_e64 v68, v0, v1, s[2:3]
	v_lshlrev_b64 v[68:69], 5, v[68:69]
	s_mov_b32 s11, 0xbfebb67a
	v_add_co_u32_e32 v0, vcc, s8, v68
	v_addc_co_u32_e32 v1, vcc, v3, v69, vcc
	v_add_co_u32_e32 v68, vcc, s16, v0
	v_addc_co_u32_e32 v69, vcc, 0, v1, vcc
	global_load_dwordx4 v[2:5], v[68:69], off offset:2000
	v_add_co_u32_e32 v72, vcc, s9, v0
	v_addc_co_u32_e32 v73, vcc, 0, v1, vcc
	global_load_dwordx4 v[6:9], v[72:73], off offset:16
	s_mov_b32 s8, 0xe8584caa
	s_mov_b32 s9, 0x3febb67a
	;; [unrolled: 1-line block ×3, first 2 shown]
	s_waitcnt vmcnt(7) lgkmcnt(4)
	v_mul_f64 v[112:113], v[156:157], v[82:83]
	s_waitcnt vmcnt(6)
	v_mul_f64 v[136:137], v[148:149], v[86:87]
	v_mul_f64 v[126:127], v[154:155], v[82:83]
	;; [unrolled: 1-line block ×3, first 2 shown]
	v_fma_f64 v[112:113], v[154:155], v[80:81], -v[112:113]
	v_fma_f64 v[136:137], v[146:147], v[84:85], -v[136:137]
	s_waitcnt vmcnt(5) lgkmcnt(2)
	v_mul_f64 v[162:163], v[150:151], v[90:91]
	v_mul_f64 v[160:161], v[152:153], v[90:91]
	s_waitcnt vmcnt(4)
	v_mul_f64 v[165:166], v[144:145], v[94:95]
	v_mul_f64 v[167:168], v[142:143], v[94:95]
	v_fma_f64 v[126:127], v[156:157], v[80:81], v[126:127]
	v_fma_f64 v[148:149], v[148:149], v[84:85], v[158:159]
	v_add_f64 v[154:155], v[112:113], v[136:137]
	v_fma_f64 v[152:153], v[152:153], v[88:89], v[162:163]
	v_fma_f64 v[150:151], v[150:151], v[88:89], -v[160:161]
	v_fma_f64 v[142:143], v[142:143], v[92:93], -v[165:166]
	v_fma_f64 v[144:145], v[144:145], v[92:93], v[167:168]
	s_waitcnt vmcnt(3) lgkmcnt(1)
	v_mul_f64 v[169:170], v[134:135], v[102:103]
	s_waitcnt vmcnt(2) lgkmcnt(0)
	v_mul_f64 v[173:174], v[124:125], v[98:99]
	v_mul_f64 v[175:176], v[122:123], v[98:99]
	;; [unrolled: 1-line block ×3, first 2 shown]
	v_fma_f64 v[156:157], v[132:133], v[100:101], -v[169:170]
	v_fma_f64 v[158:159], v[122:123], v[96:97], -v[173:174]
	v_add_f64 v[122:123], v[118:119], v[112:113]
	v_fma_f64 v[160:161], v[124:125], v[96:97], v[175:176]
	v_add_f64 v[124:125], v[150:151], v[142:143]
	v_fma_f64 v[134:135], v[134:135], v[100:101], v[171:172]
	s_waitcnt vmcnt(1)
	v_mul_f64 v[177:178], v[106:107], v[4:5]
	v_mul_f64 v[179:180], v[104:105], v[4:5]
	v_add_f64 v[132:133], v[152:153], -v[144:145]
	s_waitcnt vmcnt(0)
	v_mul_f64 v[181:182], v[110:111], v[8:9]
	v_mul_f64 v[146:147], v[108:109], v[8:9]
	v_fma_f64 v[124:125], v[124:125], -0.5, v[114:115]
	v_fma_f64 v[162:163], v[104:105], v[2:3], -v[177:178]
	buffer_store_dword v2, off, s[52:55], 0 offset:100 ; 4-byte Folded Spill
	s_nop 0
	buffer_store_dword v3, off, s[52:55], 0 offset:104 ; 4-byte Folded Spill
	buffer_store_dword v4, off, s[52:55], 0 offset:108 ; 4-byte Folded Spill
	;; [unrolled: 1-line block ×3, first 2 shown]
	v_add_f64 v[104:105], v[122:123], v[136:137]
	v_add_f64 v[122:123], v[120:121], v[126:127]
	v_fma_f64 v[165:166], v[106:107], v[2:3], v[179:180]
	v_fma_f64 v[106:107], v[154:155], -0.5, v[118:119]
	v_fma_f64 v[154:155], v[108:109], v[6:7], -v[181:182]
	buffer_store_dword v6, off, s[52:55], 0 offset:116 ; 4-byte Folded Spill
	s_nop 0
	buffer_store_dword v7, off, s[52:55], 0 offset:120 ; 4-byte Folded Spill
	buffer_store_dword v8, off, s[52:55], 0 offset:124 ; 4-byte Folded Spill
	;; [unrolled: 1-line block ×3, first 2 shown]
	v_add_f64 v[118:119], v[126:127], -v[148:149]
	v_fma_f64 v[108:109], v[118:119], s[8:9], v[106:107]
	v_fma_f64 v[146:147], v[110:111], v[6:7], v[146:147]
	v_add_f64 v[110:111], v[126:127], v[148:149]
	v_add_f64 v[126:127], v[112:113], -v[136:137]
	v_fma_f64 v[112:113], v[118:119], s[10:11], v[106:107]
	v_add_f64 v[106:107], v[122:123], v[148:149]
	v_add_f64 v[118:119], v[152:153], v[144:145]
	;; [unrolled: 1-line block ×4, first 2 shown]
	v_add_f64 v[150:151], v[150:151], -v[142:143]
	v_fma_f64 v[120:121], v[110:111], -0.5, v[120:121]
	v_fma_f64 v[148:149], v[118:119], -0.5, v[116:117]
	;; [unrolled: 1-line block ×3, first 2 shown]
	v_fma_f64 v[110:111], v[126:127], s[10:11], v[120:121]
	v_fma_f64 v[114:115], v[126:127], s[8:9], v[120:121]
	v_add_f64 v[126:127], v[116:117], v[152:153]
	v_add_f64 v[116:117], v[122:123], v[142:143]
	;; [unrolled: 1-line block ×3, first 2 shown]
	v_add_f64 v[152:153], v[134:135], -v[160:161]
	v_fma_f64 v[122:123], v[150:151], s[10:11], v[148:149]
	v_fma_f64 v[120:121], v[132:133], s[8:9], v[124:125]
	;; [unrolled: 1-line block ×3, first 2 shown]
	v_add_f64 v[118:119], v[126:127], v[144:145]
	v_add_f64 v[144:145], v[134:135], v[160:161]
	v_fma_f64 v[126:127], v[150:151], s[8:9], v[148:149]
	v_add_f64 v[128:129], v[142:143], v[158:159]
	v_add_f64 v[142:143], v[162:163], v[154:155]
	;; [unrolled: 1-line block ×3, first 2 shown]
	v_fma_f64 v[132:133], v[152:153], s[8:9], v[136:137]
	v_fma_f64 v[136:137], v[152:153], s[10:11], v[136:137]
	v_add_f64 v[134:135], v[130:131], v[134:135]
	v_fma_f64 v[144:145], v[144:145], -0.5, v[130:131]
	v_add_f64 v[150:151], v[156:157], -v[158:159]
	v_add_f64 v[152:153], v[138:139], v[162:163]
	v_fma_f64 v[142:143], v[142:143], -0.5, v[138:139]
	v_add_f64 v[156:157], v[165:166], -v[146:147]
	;; [unrolled: 3-line block ×3, first 2 shown]
	v_add_f64 v[130:131], v[134:135], v[160:161]
	v_fma_f64 v[134:135], v[150:151], s[10:11], v[144:145]
	v_fma_f64 v[138:139], v[150:151], s[8:9], v[144:145]
	v_add_f64 v[140:141], v[152:153], v[154:155]
	v_fma_f64 v[144:145], v[156:157], s[8:9], v[142:143]
	v_fma_f64 v[148:149], v[156:157], s[10:11], v[142:143]
	;; [unrolled: 3-line block ×3, first 2 shown]
	ds_write_b128 v164, v[104:107]
	ds_write_b128 v164, v[108:111] offset:10400
	ds_write_b128 v164, v[112:115] offset:20800
	;; [unrolled: 1-line block ×8, first 2 shown]
	s_and_saveexec_b64 s[8:9], s[2:3]
	s_cbranch_execz .LBB0_11
; %bb.10:
	ds_write_b128 v164, v[140:143] offset:9360
	ds_write_b128 v164, v[144:147] offset:19760
	;; [unrolled: 1-line block ×3, first 2 shown]
.LBB0_11:
	s_or_b64 exec, exec, s[8:9]
	s_waitcnt vmcnt(0) lgkmcnt(0)
	s_barrier
	s_and_saveexec_b64 s[8:9], s[0:1]
	s_cbranch_execz .LBB0_13
; %bb.12:
	v_add_co_u32_e32 v152, vcc, s14, v255
	v_mov_b32_e32 v0, s15
	v_addc_co_u32_e32 v153, vcc, 0, v0, vcc
	v_add_co_u32_e32 v162, vcc, 0x79e0, v152
	v_addc_co_u32_e32 v163, vcc, 0, v153, vcc
	v_add_co_u32_e32 v158, vcc, 0x7000, v152
	v_addc_co_u32_e32 v159, vcc, 0, v153, vcc
	global_load_dwordx4 v[158:161], v[158:159], off offset:2528
	ds_read_b128 v[154:157], v164
	s_mov_b32 s10, 0x8000
	s_waitcnt vmcnt(0) lgkmcnt(0)
	v_mul_f64 v[165:166], v[156:157], v[160:161]
	v_fma_f64 v[165:166], v[154:155], v[158:159], -v[165:166]
	v_mul_f64 v[154:155], v[154:155], v[160:161]
	v_fma_f64 v[167:168], v[156:157], v[158:159], v[154:155]
	global_load_dwordx4 v[158:161], v[162:163], off offset:2400
	ds_write_b128 v164, v[165:168]
	ds_read_b128 v[154:157], v255 offset:2400
	s_waitcnt vmcnt(0) lgkmcnt(0)
	v_mul_f64 v[162:163], v[156:157], v[160:161]
	v_fma_f64 v[165:166], v[154:155], v[158:159], -v[162:163]
	v_mul_f64 v[154:155], v[154:155], v[160:161]
	v_fma_f64 v[167:168], v[156:157], v[158:159], v[154:155]
	v_add_co_u32_e32 v158, vcc, s10, v152
	v_addc_co_u32_e32 v159, vcc, 0, v153, vcc
	global_load_dwordx4 v[158:161], v[158:159], off offset:3232
	ds_read_b128 v[154:157], v255 offset:4800
	s_mov_b32 s10, 0x9000
	ds_write_b128 v255, v[165:168] offset:2400
	s_waitcnt vmcnt(0) lgkmcnt(1)
	v_mul_f64 v[162:163], v[156:157], v[160:161]
	v_fma_f64 v[165:166], v[154:155], v[158:159], -v[162:163]
	v_mul_f64 v[154:155], v[154:155], v[160:161]
	v_add_co_u32_e32 v162, vcc, s10, v152
	v_addc_co_u32_e32 v163, vcc, 0, v153, vcc
	s_mov_b32 s10, 0xa000
	v_fma_f64 v[167:168], v[156:157], v[158:159], v[154:155]
	global_load_dwordx4 v[158:161], v[162:163], off offset:1536
	ds_read_b128 v[154:157], v255 offset:7200
	ds_write_b128 v255, v[165:168] offset:4800
	s_waitcnt vmcnt(0) lgkmcnt(1)
	v_mul_f64 v[165:166], v[156:157], v[160:161]
	v_fma_f64 v[165:166], v[154:155], v[158:159], -v[165:166]
	v_mul_f64 v[154:155], v[154:155], v[160:161]
	v_fma_f64 v[167:168], v[156:157], v[158:159], v[154:155]
	global_load_dwordx4 v[158:161], v[162:163], off offset:3936
	ds_read_b128 v[154:157], v255 offset:9600
	ds_write_b128 v255, v[165:168] offset:7200
	s_waitcnt vmcnt(0) lgkmcnt(1)
	v_mul_f64 v[162:163], v[156:157], v[160:161]
	v_fma_f64 v[165:166], v[154:155], v[158:159], -v[162:163]
	v_mul_f64 v[154:155], v[154:155], v[160:161]
	v_fma_f64 v[167:168], v[156:157], v[158:159], v[154:155]
	v_add_co_u32_e32 v158, vcc, s10, v152
	v_addc_co_u32_e32 v159, vcc, 0, v153, vcc
	global_load_dwordx4 v[158:161], v[158:159], off offset:2240
	ds_read_b128 v[154:157], v255 offset:12000
	s_mov_b32 s10, 0xb000
	ds_write_b128 v255, v[165:168] offset:9600
	s_waitcnt vmcnt(0) lgkmcnt(1)
	v_mul_f64 v[162:163], v[156:157], v[160:161]
	v_fma_f64 v[165:166], v[154:155], v[158:159], -v[162:163]
	v_mul_f64 v[154:155], v[154:155], v[160:161]
	v_add_co_u32_e32 v162, vcc, s10, v152
	v_addc_co_u32_e32 v163, vcc, 0, v153, vcc
	s_mov_b32 s10, 0xc000
	v_fma_f64 v[167:168], v[156:157], v[158:159], v[154:155]
	global_load_dwordx4 v[158:161], v[162:163], off offset:544
	ds_read_b128 v[154:157], v255 offset:14400
	ds_write_b128 v255, v[165:168] offset:12000
	s_waitcnt vmcnt(0) lgkmcnt(1)
	v_mul_f64 v[165:166], v[156:157], v[160:161]
	v_fma_f64 v[165:166], v[154:155], v[158:159], -v[165:166]
	v_mul_f64 v[154:155], v[154:155], v[160:161]
	v_fma_f64 v[167:168], v[156:157], v[158:159], v[154:155]
	global_load_dwordx4 v[158:161], v[162:163], off offset:2944
	ds_read_b128 v[154:157], v255 offset:16800
	ds_write_b128 v255, v[165:168] offset:14400
	s_waitcnt vmcnt(0) lgkmcnt(1)
	v_mul_f64 v[162:163], v[156:157], v[160:161]
	v_fma_f64 v[165:166], v[154:155], v[158:159], -v[162:163]
	v_mul_f64 v[154:155], v[154:155], v[160:161]
	v_add_co_u32_e32 v162, vcc, s10, v152
	v_addc_co_u32_e32 v163, vcc, 0, v153, vcc
	s_mov_b32 s10, 0xd000
	v_fma_f64 v[167:168], v[156:157], v[158:159], v[154:155]
	global_load_dwordx4 v[158:161], v[162:163], off offset:1248
	ds_read_b128 v[154:157], v255 offset:19200
	ds_write_b128 v255, v[165:168] offset:16800
	s_waitcnt vmcnt(0) lgkmcnt(1)
	v_mul_f64 v[165:166], v[156:157], v[160:161]
	v_fma_f64 v[165:166], v[154:155], v[158:159], -v[165:166]
	v_mul_f64 v[154:155], v[154:155], v[160:161]
	v_fma_f64 v[167:168], v[156:157], v[158:159], v[154:155]
	global_load_dwordx4 v[158:161], v[162:163], off offset:3648
	ds_read_b128 v[154:157], v255 offset:21600
	ds_write_b128 v255, v[165:168] offset:19200
	s_waitcnt vmcnt(0) lgkmcnt(1)
	v_mul_f64 v[162:163], v[156:157], v[160:161]
	v_fma_f64 v[165:166], v[154:155], v[158:159], -v[162:163]
	v_mul_f64 v[154:155], v[154:155], v[160:161]
	v_fma_f64 v[167:168], v[156:157], v[158:159], v[154:155]
	v_add_co_u32_e32 v158, vcc, s10, v152
	v_addc_co_u32_e32 v159, vcc, 0, v153, vcc
	global_load_dwordx4 v[158:161], v[158:159], off offset:1952
	ds_read_b128 v[154:157], v255 offset:24000
	s_mov_b32 s10, 0xe000
	ds_write_b128 v255, v[165:168] offset:21600
	s_waitcnt vmcnt(0) lgkmcnt(1)
	v_mul_f64 v[162:163], v[156:157], v[160:161]
	v_fma_f64 v[165:166], v[154:155], v[158:159], -v[162:163]
	v_mul_f64 v[154:155], v[154:155], v[160:161]
	v_add_co_u32_e32 v162, vcc, s10, v152
	v_addc_co_u32_e32 v163, vcc, 0, v153, vcc
	v_fma_f64 v[167:168], v[156:157], v[158:159], v[154:155]
	global_load_dwordx4 v[158:161], v[162:163], off offset:256
	ds_read_b128 v[154:157], v255 offset:26400
	ds_write_b128 v255, v[165:168] offset:24000
	s_waitcnt vmcnt(0) lgkmcnt(1)
	v_mul_f64 v[152:153], v[156:157], v[160:161]
	v_fma_f64 v[152:153], v[154:155], v[158:159], -v[152:153]
	v_mul_f64 v[154:155], v[154:155], v[160:161]
	v_fma_f64 v[154:155], v[156:157], v[158:159], v[154:155]
	global_load_dwordx4 v[156:159], v[162:163], off offset:2656
	ds_write_b128 v255, v[152:155] offset:26400
	ds_read_b128 v[152:155], v255 offset:28800
	s_waitcnt vmcnt(0) lgkmcnt(0)
	v_mul_f64 v[160:161], v[154:155], v[158:159]
	v_fma_f64 v[160:161], v[152:153], v[156:157], -v[160:161]
	v_mul_f64 v[152:153], v[152:153], v[158:159]
	v_fma_f64 v[162:163], v[154:155], v[156:157], v[152:153]
	ds_write_b128 v255, v[160:163] offset:28800
.LBB0_13:
	s_or_b64 exec, exec, s[8:9]
	s_waitcnt lgkmcnt(0)
	s_barrier
	s_and_saveexec_b64 s[8:9], s[0:1]
	s_cbranch_execz .LBB0_15
; %bb.14:
	ds_read_b128 v[104:107], v164
	ds_read_b128 v[108:111], v164 offset:2400
	ds_read_b128 v[112:115], v164 offset:4800
	;; [unrolled: 1-line block ×12, first 2 shown]
.LBB0_15:
	s_or_b64 exec, exec, s[8:9]
	s_waitcnt lgkmcnt(0)
	v_add_f64 v[0:1], v[110:111], -v[217:218]
	s_mov_b32 s10, 0x42a4c3d2
	s_mov_b32 s11, 0xbfea55e2
	v_add_f64 v[165:166], v[108:109], v[215:216]
	v_add_f64 v[167:168], v[110:111], v[217:218]
	v_add_f64 v[177:178], v[114:115], -v[150:151]
	s_mov_b32 s8, 0x1ea71119
	s_mov_b32 s24, 0x2ef20147
	v_mul_f64 v[2:3], v[0:1], s[10:11]
	s_mov_b32 s9, 0x3fe22d96
	s_mov_b32 s25, 0xbfedeba7
	v_add_f64 v[175:176], v[108:109], -v[215:216]
	v_mul_f64 v[4:5], v[167:168], s[8:9]
	v_add_f64 v[171:172], v[112:113], v[148:149]
	v_add_f64 v[173:174], v[114:115], v[150:151]
	v_mul_f64 v[8:9], v[177:178], s[24:25]
	v_fma_f64 v[152:153], v[165:166], s[8:9], -v[2:3]
	s_mov_b32 s18, 0x66966769
	s_mov_b32 s20, 0xb2365da1
	;; [unrolled: 1-line block ×4, first 2 shown]
	v_fma_f64 v[154:155], v[175:176], s[10:11], v[4:5]
	v_mul_f64 v[12:13], v[0:1], s[18:19]
	v_add_f64 v[185:186], v[112:113], -v[148:149]
	v_add_f64 v[152:153], v[104:105], v[152:153]
	v_mul_f64 v[16:17], v[173:174], s[20:21]
	v_fma_f64 v[160:161], v[171:172], s[20:21], -v[8:9]
	s_mov_b32 s16, 0xebaa3ed8
	s_mov_b32 s26, 0x4bc48dbf
	;; [unrolled: 1-line block ×4, first 2 shown]
	v_add_f64 v[154:155], v[106:107], v[154:155]
	v_mul_f64 v[10:11], v[167:168], s[16:17]
	v_fma_f64 v[156:157], v[165:166], s[16:17], -v[12:13]
	v_add_f64 v[152:153], v[160:161], v[152:153]
	v_fma_f64 v[160:161], v[185:186], s[24:25], v[16:17]
	v_mul_f64 v[20:21], v[177:178], s[26:27]
	s_mov_b32 s22, 0x93053d00
	s_mov_b32 s23, 0xbfef11f4
	v_mul_f64 v[40:41], v[173:174], s[22:23]
	v_fma_f64 v[158:159], v[175:176], s[18:19], v[10:11]
	v_add_f64 v[156:157], v[104:105], v[156:157]
	v_add_f64 v[189:190], v[118:119], -v[146:147]
	v_add_f64 v[154:155], v[160:161], v[154:155]
	v_fma_f64 v[160:161], v[171:172], s[22:23], -v[20:21]
	v_add_f64 v[179:180], v[116:117], v[144:145]
	v_add_f64 v[181:182], v[118:119], v[146:147]
	v_add_f64 v[187:188], v[116:117], -v[144:145]
	v_add_f64 v[158:159], v[106:107], v[158:159]
	s_mov_b32 s43, 0x3fedeba7
	v_mul_f64 v[6:7], v[189:190], s[26:27]
	s_mov_b32 s42, s24
	v_add_f64 v[156:157], v[160:161], v[156:157]
	v_fma_f64 v[160:161], v[185:186], s[26:27], v[40:41]
	v_mul_f64 v[18:19], v[181:182], s[22:23]
	v_mul_f64 v[30:31], v[189:190], s[42:43]
	v_mul_f64 v[42:43], v[181:182], s[20:21]
	v_add_f64 v[205:206], v[122:123], -v[142:143]
	s_mov_b32 s40, 0x24c2f84
	s_mov_b32 s41, 0x3fe5384d
	v_add_f64 v[193:194], v[120:121], v[140:141]
	v_add_f64 v[158:159], v[160:161], v[158:159]
	v_fma_f64 v[160:161], v[179:180], s[22:23], -v[6:7]
	v_add_f64 v[195:196], v[122:123], v[142:143]
	v_add_f64 v[207:208], v[120:121], -v[140:141]
	v_mul_f64 v[14:15], v[205:206], s[40:41]
	s_mov_b32 s35, 0x3fddbe06
	s_mov_b32 s34, 0x4267c47c
	v_mul_f64 v[36:37], v[205:206], s[34:35]
	s_mov_b32 s30, 0xe00740e9
	v_add_f64 v[152:153], v[160:161], v[152:153]
	v_fma_f64 v[160:161], v[187:188], s[26:27], v[18:19]
	v_mul_f64 v[22:23], v[195:196], s[28:29]
	s_mov_b32 s31, 0x3fec55a7
	v_mul_f64 v[44:45], v[195:196], s[30:31]
	v_add_f64 v[229:230], v[126:127], -v[138:139]
	s_mov_b32 s45, 0x3fefc445
	s_mov_b32 s44, s18
	v_add_f64 v[211:212], v[124:125], v[136:137]
	v_add_f64 v[154:155], v[160:161], v[154:155]
	v_fma_f64 v[160:161], v[179:180], s[20:21], -v[30:31]
	v_add_f64 v[213:214], v[126:127], v[138:139]
	v_add_f64 v[221:222], v[124:125], -v[136:137]
	v_mul_f64 v[28:29], v[229:230], s[44:45]
	v_mul_f64 v[38:39], v[229:230], s[10:11]
	v_add_f64 v[241:242], v[130:131], -v[134:135]
	v_add_f64 v[223:224], v[128:129], v[132:133]
	v_add_f64 v[227:228], v[130:131], v[134:135]
	;; [unrolled: 1-line block ×3, first 2 shown]
	v_fma_f64 v[160:161], v[187:188], s[42:43], v[42:43]
	v_mul_f64 v[34:35], v[213:214], s[16:17]
	v_mul_f64 v[50:51], v[213:214], s[8:9]
	v_add_f64 v[235:236], v[128:129], -v[132:133]
	v_mul_f64 v[32:33], v[241:242], s[34:35]
	s_mov_b32 s38, s40
	v_mul_f64 v[46:47], v[227:228], s[30:31]
	v_mul_f64 v[191:192], v[241:242], s[38:39]
	v_add_f64 v[158:159], v[160:161], v[158:159]
	v_fma_f64 v[160:161], v[193:194], s[28:29], -v[14:15]
	v_mul_f64 v[197:198], v[227:228], s[28:29]
	s_barrier
	v_add_f64 v[152:153], v[160:161], v[152:153]
	v_fma_f64 v[160:161], v[207:208], s[40:41], v[22:23]
	v_add_f64 v[154:155], v[160:161], v[154:155]
	v_fma_f64 v[160:161], v[193:194], s[30:31], -v[36:37]
	v_add_f64 v[156:157], v[160:161], v[156:157]
	v_fma_f64 v[160:161], v[207:208], s[34:35], v[44:45]
	v_add_f64 v[158:159], v[160:161], v[158:159]
	v_fma_f64 v[160:161], v[211:212], s[16:17], -v[28:29]
	;; [unrolled: 4-line block ×5, first 2 shown]
	v_add_f64 v[156:157], v[160:161], v[156:157]
	v_fma_f64 v[160:161], v[235:236], s[38:39], v[197:198]
	v_add_f64 v[158:159], v[160:161], v[158:159]
	s_and_saveexec_b64 s[36:37], s[0:1]
	s_cbranch_execz .LBB0_17
; %bb.16:
	v_mul_f64 v[48:49], v[165:166], s[8:9]
	v_mul_f64 v[160:161], v[175:176], s[26:27]
	;; [unrolled: 1-line block ×4, first 2 shown]
	v_add_f64 v[108:109], v[104:105], v[108:109]
	v_add_f64 v[110:111], v[106:107], v[110:111]
	buffer_store_dword v48, off, s[52:55], 0 offset:224 ; 4-byte Folded Spill
	s_nop 0
	buffer_store_dword v49, off, s[52:55], 0 offset:228 ; 4-byte Folded Spill
	v_mul_f64 v[48:49], v[175:176], s[10:11]
	buffer_store_dword v48, off, s[52:55], 0 offset:256 ; 4-byte Folded Spill
	s_nop 0
	buffer_store_dword v49, off, s[52:55], 0 offset:260 ; 4-byte Folded Spill
	v_mul_f64 v[48:49], v[165:166], s[16:17]
	v_add_f64 v[108:109], v[108:109], v[112:113]
	v_add_f64 v[110:111], v[110:111], v[114:115]
	v_mul_f64 v[114:115], v[207:208], s[24:25]
	buffer_store_dword v48, off, s[52:55], 0 offset:288 ; 4-byte Folded Spill
	s_nop 0
	buffer_store_dword v49, off, s[52:55], 0 offset:292 ; 4-byte Folded Spill
	v_mul_f64 v[48:49], v[175:176], s[18:19]
	v_add_f64 v[108:109], v[108:109], v[116:117]
	v_add_f64 v[110:111], v[110:111], v[118:119]
	v_fma_f64 v[118:119], v[195:196], s[20:21], v[114:115]
	v_fma_f64 v[114:115], v[195:196], s[20:21], -v[114:115]
	buffer_store_dword v48, off, s[52:55], 0 offset:328 ; 4-byte Folded Spill
	s_nop 0
	buffer_store_dword v49, off, s[52:55], 0 offset:332 ; 4-byte Folded Spill
	v_mul_f64 v[48:49], v[171:172], s[20:21]
	v_add_f64 v[120:121], v[108:109], v[120:121]
	v_add_f64 v[110:111], v[110:111], v[122:123]
	buffer_store_dword v48, off, s[52:55], 0 offset:216 ; 4-byte Folded Spill
	s_nop 0
	buffer_store_dword v49, off, s[52:55], 0 offset:220 ; 4-byte Folded Spill
	v_mul_f64 v[48:49], v[185:186], s[24:25]
	v_add_f64 v[120:121], v[120:121], v[124:125]
	v_add_f64 v[110:111], v[110:111], v[126:127]
	v_mul_f64 v[124:125], v[241:242], s[26:27]
	v_mul_f64 v[126:127], v[229:230], s[38:39]
	buffer_store_dword v48, off, s[52:55], 0 offset:248 ; 4-byte Folded Spill
	s_nop 0
	buffer_store_dword v49, off, s[52:55], 0 offset:252 ; 4-byte Folded Spill
	v_mul_f64 v[48:49], v[171:172], s[22:23]
	v_add_f64 v[120:121], v[120:121], v[128:129]
	v_add_f64 v[110:111], v[110:111], v[130:131]
	v_mul_f64 v[130:131], v[189:190], s[18:19]
	buffer_store_dword v48, off, s[52:55], 0 offset:312 ; 4-byte Folded Spill
	s_nop 0
	buffer_store_dword v49, off, s[52:55], 0 offset:316 ; 4-byte Folded Spill
	v_mul_f64 v[48:49], v[185:186], s[26:27]
	v_add_f64 v[120:121], v[120:121], v[132:133]
	v_add_f64 v[110:111], v[110:111], v[134:135]
	buffer_store_dword v48, off, s[52:55], 0 offset:352 ; 4-byte Folded Spill
	s_nop 0
	buffer_store_dword v49, off, s[52:55], 0 offset:356 ; 4-byte Folded Spill
	v_mul_f64 v[48:49], v[179:180], s[22:23]
	v_add_f64 v[110:111], v[110:111], v[138:139]
	v_add_f64 v[120:121], v[120:121], v[136:137]
	;; [unrolled: 6-line block ×4, first 2 shown]
	buffer_store_dword v48, off, s[52:55], 0 offset:344 ; 4-byte Folded Spill
	s_nop 0
	buffer_store_dword v49, off, s[52:55], 0 offset:348 ; 4-byte Folded Spill
	buffer_store_dword v24, off, s[52:55], 0 offset:164 ; 4-byte Folded Spill
	s_nop 0
	buffer_store_dword v25, off, s[52:55], 0 offset:168 ; 4-byte Folded Spill
	buffer_store_dword v26, off, s[52:55], 0 offset:172 ; 4-byte Folded Spill
	;; [unrolled: 1-line block ×4, first 2 shown]
	s_nop 0
	buffer_store_dword v35, off, s[52:55], 0 offset:276 ; 4-byte Folded Spill
	v_mul_f64 v[24:25], v[187:188], s[42:43]
	v_mov_b32_e32 v35, v203
	v_fma_f64 v[202:203], v[167:168], s[22:23], v[160:161]
	s_mov_b32 s43, 0x3fea55e2
	s_mov_b32 s42, s10
	v_mul_f64 v[219:220], v[207:208], s[42:43]
	v_fma_f64 v[160:161], v[167:168], s[22:23], -v[160:161]
	buffer_store_dword v24, off, s[52:55], 0 offset:368 ; 4-byte Folded Spill
	s_nop 0
	buffer_store_dword v25, off, s[52:55], 0 offset:372 ; 4-byte Folded Spill
	v_mul_f64 v[24:25], v[193:194], s[28:29]
	v_add_f64 v[202:203], v[106:107], v[202:203]
	v_mov_b32_e32 v49, v5
	v_mov_b32_e32 v48, v4
	v_fma_f64 v[68:69], v[195:196], s[8:9], v[219:220]
	v_add_f64 v[160:161], v[106:107], v[160:161]
	v_fma_f64 v[219:220], v[195:196], s[8:9], -v[219:220]
	buffer_store_dword v24, off, s[52:55], 0 offset:208 ; 4-byte Folded Spill
	s_nop 0
	buffer_store_dword v25, off, s[52:55], 0 offset:212 ; 4-byte Folded Spill
	v_mul_f64 v[24:25], v[207:208], s[40:41]
	v_add_f64 v[110:111], v[110:111], v[150:151]
	v_add_f64 v[120:121], v[120:121], v[148:149]
	buffer_store_dword v24, off, s[52:55], 0 offset:264 ; 4-byte Folded Spill
	s_nop 0
	buffer_store_dword v25, off, s[52:55], 0 offset:268 ; 4-byte Folded Spill
	buffer_store_dword v16, off, s[52:55], 0 offset:304 ; 4-byte Folded Spill
	s_nop 0
	buffer_store_dword v17, off, s[52:55], 0 offset:308 ; 4-byte Folded Spill
	;; [unrolled: 3-line block ×4, first 2 shown]
	v_mov_b32_e32 v17, v215
	v_mov_b32_e32 v18, v216
	;; [unrolled: 1-line block ×4, first 2 shown]
	v_mul_f64 v[215:216], v[177:178], s[34:35]
	v_fma_f64 v[217:218], v[165:166], s[22:23], -v[162:163]
	buffer_store_dword v231, off, s[52:55], 0 offset:132 ; 4-byte Folded Spill
	s_nop 0
	buffer_store_dword v232, off, s[52:55], 0 offset:136 ; 4-byte Folded Spill
	buffer_store_dword v233, off, s[52:55], 0 offset:140 ; 4-byte Folded Spill
	;; [unrolled: 1-line block ×3, first 2 shown]
	v_mul_f64 v[231:232], v[187:188], s[38:39]
	v_fma_f64 v[233:234], v[173:174], s[30:31], v[200:201]
	buffer_store_dword v237, off, s[52:55], 0 offset:148 ; 4-byte Folded Spill
	s_nop 0
	buffer_store_dword v238, off, s[52:55], 0 offset:152 ; 4-byte Folded Spill
	buffer_store_dword v239, off, s[52:55], 0 offset:156 ; 4-byte Folded Spill
	;; [unrolled: 1-line block ×3, first 2 shown]
	v_mul_f64 v[239:240], v[189:190], s[38:39]
	v_mov_b32_e32 v16, v209
	v_fma_f64 v[209:210], v[171:172], s[30:31], -v[215:216]
	v_add_f64 v[217:218], v[104:105], v[217:218]
	v_mul_f64 v[24:25], v[193:194], s[30:31]
	v_fma_f64 v[237:238], v[181:182], s[28:29], v[231:232]
	v_add_f64 v[202:203], v[233:234], v[202:203]
	v_mul_f64 v[233:234], v[205:206], s[42:43]
	v_fma_f64 v[225:226], v[179:180], s[28:29], -v[239:240]
	buffer_store_dword v24, off, s[52:55], 0 offset:360 ; 4-byte Folded Spill
	s_nop 0
	buffer_store_dword v25, off, s[52:55], 0 offset:364 ; 4-byte Folded Spill
	v_add_f64 v[209:210], v[209:210], v[217:218]
	v_mul_f64 v[217:218], v[221:222], s[24:25]
	v_add_f64 v[70:71], v[237:238], v[202:203]
	v_mul_f64 v[24:25], v[211:212], s[16:17]
	v_mul_f64 v[202:203], v[229:230], s[24:25]
	v_fma_f64 v[237:238], v[193:194], s[8:9], -v[233:234]
	v_fma_f64 v[200:201], v[173:174], s[30:31], -v[200:201]
	buffer_store_dword v24, off, s[52:55], 0 offset:232 ; 4-byte Folded Spill
	s_nop 0
	buffer_store_dword v25, off, s[52:55], 0 offset:236 ; 4-byte Folded Spill
	v_add_f64 v[209:210], v[225:226], v[209:210]
	v_mul_f64 v[225:226], v[235:236], s[44:45]
	v_fma_f64 v[72:73], v[213:214], s[20:21], v[217:218]
	v_add_f64 v[68:69], v[68:69], v[70:71]
	v_mul_f64 v[24:25], v[221:222], s[44:45]
	v_mul_f64 v[70:71], v[241:242], s[44:45]
	v_fma_f64 v[74:75], v[211:212], s[20:21], -v[202:203]
	v_add_f64 v[160:161], v[200:201], v[160:161]
	v_add_f64 v[200:201], v[237:238], v[209:210]
	v_fma_f64 v[231:232], v[181:182], s[28:29], -v[231:232]
	v_fma_f64 v[237:238], v[227:228], s[16:17], v[225:226]
	v_add_f64 v[68:69], v[72:73], v[68:69]
	buffer_store_dword v24, off, s[52:55], 0 offset:336 ; 4-byte Folded Spill
	s_nop 0
	buffer_store_dword v25, off, s[52:55], 0 offset:340 ; 4-byte Folded Spill
	v_mul_f64 v[24:25], v[211:212], s[8:9]
	v_fma_f64 v[72:73], v[223:224], s[16:17], -v[70:71]
	buffer_store_dword v24, off, s[52:55], 0 offset:384 ; 4-byte Folded Spill
	s_nop 0
	buffer_store_dword v25, off, s[52:55], 0 offset:388 ; 4-byte Folded Spill
	v_add_f64 v[74:75], v[74:75], v[200:201]
	v_add_f64 v[160:161], v[231:232], v[160:161]
	v_fma_f64 v[200:201], v[165:166], s[22:23], v[162:163]
	v_add_f64 v[26:27], v[237:238], v[68:69]
	v_fma_f64 v[68:69], v[213:214], s[20:21], -v[217:218]
	v_mul_f64 v[217:218], v[175:176], s[38:39]
	v_mul_f64 v[237:238], v[177:178], s[44:45]
	v_mov_b32_e32 v163, v1
	v_add_f64 v[24:25], v[72:73], v[74:75]
	v_add_f64 v[219:220], v[219:220], v[160:161]
	v_fma_f64 v[72:73], v[171:172], s[30:31], v[215:216]
	v_mul_f64 v[74:75], v[0:1], s[38:39]
	v_add_f64 v[200:201], v[104:105], v[200:201]
	v_fma_f64 v[215:216], v[227:228], s[16:17], -v[225:226]
	v_mul_f64 v[225:226], v[185:186], s[44:45]
	v_fma_f64 v[231:232], v[167:168], s[28:29], v[217:218]
	buffer_store_dword v24, off, s[52:55], 0 offset:184 ; 4-byte Folded Spill
	s_nop 0
	buffer_store_dword v25, off, s[52:55], 0 offset:188 ; 4-byte Folded Spill
	buffer_store_dword v26, off, s[52:55], 0 offset:192 ; 4-byte Folded Spill
	buffer_store_dword v27, off, s[52:55], 0 offset:196 ; 4-byte Folded Spill
	buffer_store_dword v22, off, s[52:55], 0 offset:392 ; 4-byte Folded Spill
	s_nop 0
	buffer_store_dword v23, off, s[52:55], 0 offset:396 ; 4-byte Folded Spill
	v_mov_b32_e32 v21, v243
	v_add_f64 v[68:69], v[68:69], v[219:220]
	v_fma_f64 v[219:220], v[179:180], s[28:29], v[239:240]
	v_fma_f64 v[239:240], v[165:166], s[28:29], -v[74:75]
	v_add_f64 v[72:73], v[72:73], v[200:201]
	v_mov_b32_e32 v22, v244
	v_mov_b32_e32 v23, v245
	;; [unrolled: 1-line block ×3, first 2 shown]
	v_mul_f64 v[243:244], v[187:188], s[10:11]
	v_fma_f64 v[200:201], v[173:174], s[16:17], v[225:226]
	v_add_f64 v[231:232], v[106:107], v[231:232]
	buffer_store_dword v28, off, s[52:55], 0 offset:296 ; 4-byte Folded Spill
	s_nop 0
	buffer_store_dword v29, off, s[52:55], 0 offset:300 ; 4-byte Folded Spill
	s_mov_b32 s45, 0x3fcea1e5
	v_mov_b32_e32 v25, v247
	s_mov_b32 s44, s26
	buffer_store_dword v2, off, s[52:55], 0 offset:400 ; 4-byte Folded Spill
	s_nop 0
	buffer_store_dword v3, off, s[52:55], 0 offset:404 ; 4-byte Folded Spill
	v_mul_f64 v[245:246], v[189:190], s[10:11]
	v_mov_b32_e32 v26, v248
	v_mov_b32_e32 v27, v249
	;; [unrolled: 1-line block ×3, first 2 shown]
	v_fma_f64 v[247:248], v[171:172], s[16:17], -v[237:238]
	v_add_f64 v[239:240], v[104:105], v[239:240]
	v_mul_f64 v[249:250], v[207:208], s[44:45]
	v_mov_b32_e32 v162, v0
	v_fma_f64 v[0:1], v[181:182], s[8:9], v[243:244]
	v_add_f64 v[2:3], v[200:201], v[231:232]
	buffer_store_dword v32, off, s[52:55], 0 offset:320 ; 4-byte Folded Spill
	s_nop 0
	buffer_store_dword v33, off, s[52:55], 0 offset:324 ; 4-byte Folded Spill
	buffer_store_dword v183, off, s[52:55], 0 offset:180 ; 4-byte Folded Spill
	buffer_load_dword v33, off, s[52:55], 0 offset:328 ; 4-byte Folded Reload
	s_nop 0
	buffer_load_dword v34, off, s[52:55], 0 offset:332 ; 4-byte Folded Reload
	v_fma_f64 v[200:201], v[193:194], s[8:9], v[233:234]
	v_mul_f64 v[231:232], v[205:206], s[44:45]
	v_fma_f64 v[233:234], v[179:180], s[8:9], -v[245:246]
	v_add_f64 v[239:240], v[247:248], v[239:240]
	v_add_f64 v[72:73], v[219:220], v[72:73]
	v_mul_f64 v[219:220], v[221:222], s[34:35]
	v_fma_f64 v[247:248], v[195:196], s[22:23], v[249:250]
	v_add_f64 v[0:1], v[0:1], v[2:3]
	v_mov_b32_e32 v161, v31
	v_mov_b32_e32 v160, v30
	;; [unrolled: 1-line block ×3, first 2 shown]
	v_fma_f64 v[2:3], v[211:212], s[20:21], v[202:203]
	v_mul_f64 v[202:203], v[229:230], s[34:35]
	v_mov_b32_e32 v30, v252
	v_mov_b32_e32 v31, v253
	;; [unrolled: 1-line block ×3, first 2 shown]
	v_fma_f64 v[251:252], v[193:194], s[22:23], -v[231:232]
	v_add_f64 v[233:234], v[233:234], v[239:240]
	v_add_f64 v[72:73], v[200:201], v[72:73]
	v_mul_f64 v[200:201], v[235:236], s[24:25]
	v_fma_f64 v[239:240], v[213:214], s[30:31], v[219:220]
	v_add_f64 v[0:1], v[247:248], v[0:1]
	v_fma_f64 v[217:218], v[167:168], s[28:29], -v[217:218]
	v_mul_f64 v[247:248], v[241:242], s[24:25]
	v_fma_f64 v[253:254], v[211:212], s[30:31], -v[202:203]
	v_add_f64 v[233:234], v[251:252], v[233:234]
	v_fma_f64 v[251:252], v[223:224], s[16:17], v[70:71]
	v_add_f64 v[2:3], v[2:3], v[72:73]
	v_fma_f64 v[72:73], v[227:228], s[20:21], v[200:201]
	v_add_f64 v[0:1], v[239:240], v[0:1]
	v_fma_f64 v[225:226], v[173:174], s[16:17], -v[225:226]
	v_add_f64 v[217:218], v[106:107], v[217:218]
	v_add_f64 v[70:71], v[215:216], v[68:69]
	v_fma_f64 v[215:216], v[165:166], s[28:29], v[74:75]
	v_fma_f64 v[239:240], v[223:224], s[20:21], -v[247:248]
	v_add_f64 v[233:234], v[253:254], v[233:234]
	v_add_f64 v[68:69], v[251:252], v[2:3]
	;; [unrolled: 1-line block ×3, first 2 shown]
	v_mul_f64 v[0:1], v[175:176], s[24:25]
	v_fma_f64 v[2:3], v[181:182], s[8:9], -v[243:244]
	v_add_f64 v[217:218], v[225:226], v[217:218]
	v_fma_f64 v[225:226], v[171:172], s[16:17], v[237:238]
	v_add_f64 v[215:216], v[104:105], v[215:216]
	v_add_f64 v[72:73], v[239:240], v[233:234]
	v_mul_f64 v[237:238], v[185:186], s[40:41]
	v_fma_f64 v[243:244], v[179:180], s[8:9], v[245:246]
	v_fma_f64 v[233:234], v[167:168], s[20:21], v[0:1]
	v_fma_f64 v[239:240], v[195:196], s[22:23], -v[249:250]
	v_add_f64 v[2:3], v[2:3], v[217:218]
	v_mul_f64 v[217:218], v[162:163], s[24:25]
	v_add_f64 v[215:216], v[225:226], v[215:216]
	v_mul_f64 v[225:226], v[187:188], s[34:35]
	v_fma_f64 v[245:246], v[173:174], s[28:29], v[237:238]
	v_mul_f64 v[249:250], v[177:178], s[40:41]
	v_add_f64 v[233:234], v[106:107], v[233:234]
	v_fma_f64 v[231:232], v[193:194], s[22:23], v[231:232]
	v_fma_f64 v[219:220], v[213:214], s[30:31], -v[219:220]
	v_fma_f64 v[251:252], v[165:166], s[20:21], -v[217:218]
	v_add_f64 v[215:216], v[243:244], v[215:216]
	v_mul_f64 v[243:244], v[207:208], s[18:19]
	v_fma_f64 v[253:254], v[181:182], s[30:31], v[225:226]
	v_fma_f64 v[183:184], v[171:172], s[28:29], -v[249:250]
	v_add_f64 v[233:234], v[245:246], v[233:234]
	v_mul_f64 v[245:246], v[189:190], s[34:35]
	v_add_f64 v[2:3], v[239:240], v[2:3]
	v_add_f64 v[251:252], v[104:105], v[251:252]
	v_fma_f64 v[202:203], v[211:212], s[30:31], v[202:203]
	v_add_f64 v[215:216], v[231:232], v[215:216]
	v_fma_f64 v[200:201], v[227:228], s[20:21], -v[200:201]
	v_mul_f64 v[169:170], v[221:222], s[44:45]
	v_fma_f64 v[231:232], v[195:196], s[16:17], v[243:244]
	v_add_f64 v[233:234], v[253:254], v[233:234]
	v_fma_f64 v[239:240], v[179:180], s[30:31], -v[245:246]
	v_add_f64 v[183:184], v[183:184], v[251:252]
	v_mul_f64 v[251:252], v[205:206], s[18:19]
	v_add_f64 v[2:3], v[219:220], v[2:3]
	v_fma_f64 v[219:220], v[223:224], s[20:21], v[247:248]
	v_add_f64 v[202:203], v[202:203], v[215:216]
	v_fma_f64 v[253:254], v[213:214], s[22:23], v[169:170]
	v_add_f64 v[247:248], v[231:232], v[233:234]
	v_fma_f64 v[0:1], v[167:168], s[20:21], -v[0:1]
	v_add_f64 v[183:184], v[239:240], v[183:184]
	v_fma_f64 v[239:240], v[193:194], s[16:17], -v[251:252]
	v_add_f64 v[233:234], v[200:201], v[2:3]
	v_mul_f64 v[2:3], v[229:230], s[44:45]
	v_add_f64 v[231:232], v[219:220], v[202:203]
	v_mul_f64 v[202:203], v[235:236], s[42:43]
	v_add_f64 v[219:220], v[253:254], v[247:248]
	s_waitcnt vmcnt(0)
	v_add_f64 v[253:254], v[10:11], -v[33:34]
	v_mov_b32_e32 v34, v7
	v_add_f64 v[183:184], v[239:240], v[183:184]
	v_mov_b32_e32 v33, v6
	v_fma_f64 v[239:240], v[211:212], s[22:23], -v[2:3]
	buffer_load_dword v6, off, s[52:55], 0 offset:352 ; 4-byte Folded Reload
	buffer_load_dword v7, off, s[52:55], 0 offset:356 ; 4-byte Folded Reload
	v_fma_f64 v[4:5], v[227:228], s[8:9], v[202:203]
	v_fma_f64 v[237:238], v[173:174], s[28:29], -v[237:238]
	v_add_f64 v[0:1], v[106:107], v[0:1]
	v_fma_f64 v[217:218], v[165:166], s[20:21], v[217:218]
	v_add_f64 v[253:254], v[106:107], v[253:254]
	v_fma_f64 v[249:250], v[171:172], s[28:29], v[249:250]
	v_add_f64 v[183:184], v[239:240], v[183:184]
	v_mul_f64 v[10:11], v[241:242], s[42:43]
	v_add_f64 v[239:240], v[4:5], v[219:220]
	buffer_load_dword v219, off, s[52:55], 0 offset:288 ; 4-byte Folded Reload
	buffer_load_dword v220, off, s[52:55], 0 offset:292 ; 4-byte Folded Reload
	v_add_f64 v[0:1], v[237:238], v[0:1]
	v_fma_f64 v[4:5], v[181:182], s[30:31], -v[225:226]
	v_add_f64 v[217:218], v[104:105], v[217:218]
	v_mul_f64 v[237:238], v[235:236], s[38:39]
	v_mul_f64 v[209:210], v[207:208], s[34:35]
	v_fma_f64 v[225:226], v[223:224], s[8:9], -v[10:11]
	v_mul_f64 v[215:216], v[221:222], s[10:11]
	v_fma_f64 v[202:203], v[227:228], s[8:9], -v[202:203]
	v_fma_f64 v[2:3], v[211:212], s[22:23], v[2:3]
	v_add_f64 v[0:1], v[4:5], v[0:1]
	v_add_f64 v[217:218], v[249:250], v[217:218]
	v_mul_f64 v[247:248], v[235:236], s[34:35]
	v_add_f64 v[209:210], v[44:45], -v[209:210]
	s_mov_b32 s35, 0xbfddbe06
	v_add_f64 v[215:216], v[50:51], -v[215:216]
	v_mul_f64 v[185:186], v[185:186], s[10:11]
	v_mul_f64 v[122:123], v[162:163], s[34:35]
	;; [unrolled: 1-line block ×3, first 2 shown]
	v_fma_f64 v[10:11], v[223:224], s[8:9], v[10:11]
	v_fma_f64 v[128:129], v[165:166], s[30:31], v[122:123]
	v_fma_f64 v[122:123], v[165:166], s[30:31], -v[122:123]
	v_fma_f64 v[165:166], v[173:174], s[8:9], -v[185:186]
	v_add_f64 v[128:129], v[104:105], v[128:129]
	s_waitcnt vmcnt(2)
	v_add_f64 v[6:7], v[40:41], -v[6:7]
	v_mov_b32_e32 v41, v9
	v_mov_b32_e32 v40, v8
	v_mul_f64 v[8:9], v[223:224], s[28:29]
	v_add_f64 v[6:7], v[6:7], v[253:254]
	s_waitcnt vmcnt(0)
	v_add_f64 v[219:220], v[219:220], v[12:13]
	buffer_load_dword v12, off, s[52:55], 0 offset:368 ; 4-byte Folded Reload
	buffer_load_dword v13, off, s[52:55], 0 offset:372 ; 4-byte Folded Reload
	v_add_f64 v[219:220], v[104:105], v[219:220]
	s_waitcnt vmcnt(0)
	v_add_f64 v[12:13], v[42:43], -v[12:13]
	v_mov_b32_e32 v43, v15
	v_mov_b32_e32 v42, v14
	v_fma_f64 v[14:15], v[195:196], s[16:17], -v[243:244]
	buffer_load_dword v4, off, s[52:55], 0 offset:312 ; 4-byte Folded Reload
	buffer_load_dword v5, off, s[52:55], 0 offset:316 ; 4-byte Folded Reload
	;; [unrolled: 1-line block ×4, first 2 shown]
	v_add_f64 v[6:7], v[12:13], v[6:7]
	v_fma_f64 v[12:13], v[213:214], s[22:23], -v[169:170]
	v_fma_f64 v[169:170], v[193:194], s[16:17], v[251:252]
	v_add_f64 v[0:1], v[14:15], v[0:1]
	buffer_load_dword v14, off, s[52:55], 0 offset:344 ; 4-byte Folded Reload
	buffer_load_dword v15, off, s[52:55], 0 offset:348 ; 4-byte Folded Reload
	v_mov_b32_e32 v254, v32
	v_mov_b32_e32 v253, v31
	;; [unrolled: 1-line block ×3, first 2 shown]
	v_add_f64 v[6:7], v[209:210], v[6:7]
	v_mov_b32_e32 v251, v29
	v_add_f64 v[0:1], v[12:13], v[0:1]
	buffer_load_dword v12, off, s[52:55], 0 offset:360 ; 4-byte Folded Reload
	buffer_load_dword v13, off, s[52:55], 0 offset:364 ; 4-byte Folded Reload
	v_add_f64 v[6:7], v[215:216], v[6:7]
	s_waitcnt vmcnt(4)
	v_add_f64 v[4:5], v[4:5], v[243:244]
	v_fma_f64 v[243:244], v[179:180], s[30:31], v[245:246]
	s_waitcnt vmcnt(2)
	v_add_f64 v[14:15], v[14:15], v[160:161]
	v_add_f64 v[217:218], v[243:244], v[217:218]
	v_mov_b32_e32 v246, v24
	v_mov_b32_e32 v245, v23
	;; [unrolled: 1-line block ×4, first 2 shown]
	buffer_load_dword v21, off, s[52:55], 0 offset:384 ; 4-byte Folded Reload
	buffer_load_dword v22, off, s[52:55], 0 offset:388 ; 4-byte Folded Reload
	v_add_f64 v[4:5], v[4:5], v[219:220]
	s_waitcnt vmcnt(2)
	v_add_f64 v[12:13], v[12:13], v[36:37]
	v_add_f64 v[4:5], v[14:15], v[4:5]
	;; [unrolled: 1-line block ×3, first 2 shown]
	v_add_f64 v[169:170], v[197:198], -v[237:238]
	v_add_f64 v[237:238], v[225:226], v[183:184]
	v_add_f64 v[197:198], v[202:203], v[0:1]
	;; [unrolled: 1-line block ×6, first 2 shown]
	v_mul_f64 v[169:170], v[175:176], s[34:35]
	v_add_f64 v[195:196], v[10:11], v[12:13]
	v_fma_f64 v[202:203], v[167:168], s[30:31], v[169:170]
	v_fma_f64 v[167:168], v[167:168], s[30:31], -v[169:170]
	v_mul_f64 v[169:170], v[177:178], s[10:11]
	v_add_f64 v[202:203], v[106:107], v[202:203]
	v_fma_f64 v[132:133], v[171:172], s[8:9], -v[169:170]
	s_waitcnt vmcnt(0)
	v_add_f64 v[183:184], v[21:22], v[38:39]
	buffer_load_dword v21, off, s[52:55], 0 offset:256 ; 4-byte Folded Reload
	buffer_load_dword v22, off, s[52:55], 0 offset:260 ; 4-byte Folded Reload
	;; [unrolled: 1-line block ×10, first 2 shown]
	v_add_f64 v[4:5], v[183:184], v[4:5]
	s_waitcnt vmcnt(8)
	v_add_f64 v[209:210], v[48:49], -v[21:22]
	buffer_load_dword v21, off, s[52:55], 0 offset:272 ; 4-byte Folded Reload
	buffer_load_dword v22, off, s[52:55], 0 offset:276 ; 4-byte Folded Reload
	;; [unrolled: 1-line block ×4, first 2 shown]
	s_waitcnt vmcnt(8)
	v_add_f64 v[0:1], v[2:3], -v[0:1]
	s_waitcnt vmcnt(4)
	v_add_f64 v[8:9], v[8:9], v[14:15]
	v_add_f64 v[14:15], v[46:47], -v[247:248]
	v_mov_b32_e32 v250, v28
	v_mov_b32_e32 v249, v27
	;; [unrolled: 1-line block ×3, first 2 shown]
	v_add_f64 v[2:3], v[106:107], v[209:210]
	v_mov_b32_e32 v247, v25
	v_add_f64 v[106:107], v[106:107], v[167:168]
	v_add_f64 v[8:9], v[104:105], v[8:9]
	v_fma_f64 v[167:168], v[171:172], s[8:9], v[169:170]
	v_add_f64 v[104:105], v[104:105], v[122:123]
	v_fma_f64 v[122:123], v[179:180], s[16:17], v[130:131]
	v_fma_f64 v[130:131], v[179:180], s[16:17], -v[130:131]
	v_add_f64 v[0:1], v[0:1], v[2:3]
	v_mov_b32_e32 v209, v16
	v_add_f64 v[106:107], v[165:166], v[106:107]
	v_add_f64 v[128:129], v[167:168], v[128:129]
	;; [unrolled: 1-line block ×5, first 2 shown]
	s_waitcnt vmcnt(0)
	v_add_f64 v[175:176], v[21:22], -v[23:24]
	buffer_load_dword v21, off, s[52:55], 0 offset:240 ; 4-byte Folded Reload
	buffer_load_dword v22, off, s[52:55], 0 offset:244 ; 4-byte Folded Reload
	;; [unrolled: 1-line block ×6, first 2 shown]
	s_waitcnt vmcnt(2)
	v_add_f64 v[183:184], v[23:24], -v[21:22]
	buffer_load_dword v21, off, s[52:55], 0 offset:264 ; 4-byte Folded Reload
	buffer_load_dword v22, off, s[52:55], 0 offset:268 ; 4-byte Folded Reload
	;; [unrolled: 1-line block ×4, first 2 shown]
	s_waitcnt vmcnt(4)
	v_add_f64 v[2:3], v[2:3], v[40:41]
	v_add_f64 v[0:1], v[183:184], v[0:1]
	;; [unrolled: 1-line block ×3, first 2 shown]
	v_mul_f64 v[8:9], v[187:188], s[18:19]
	v_fma_f64 v[187:188], v[173:174], s[8:9], v[185:186]
	v_add_f64 v[187:188], v[187:188], v[202:203]
	v_mov_b32_e32 v203, v35
	s_waitcnt vmcnt(0)
	v_add_f64 v[191:192], v[23:24], -v[21:22]
	buffer_load_dword v21, off, s[52:55], 0 offset:200 ; 4-byte Folded Reload
	buffer_load_dword v22, off, s[52:55], 0 offset:204 ; 4-byte Folded Reload
	v_add_f64 v[0:1], v[191:192], v[0:1]
	v_add_f64 v[0:1], v[175:176], v[0:1]
	;; [unrolled: 1-line block ×3, first 2 shown]
	s_waitcnt vmcnt(0)
	v_add_f64 v[183:184], v[21:22], v[33:34]
	buffer_load_dword v21, off, s[52:55], 0 offset:208 ; 4-byte Folded Reload
	buffer_load_dword v22, off, s[52:55], 0 offset:212 ; 4-byte Folded Reload
	;; [unrolled: 1-line block ×6, first 2 shown]
	v_add_f64 v[2:3], v[183:184], v[2:3]
	v_fma_f64 v[183:184], v[181:182], s[16:17], v[8:9]
	v_fma_f64 v[8:9], v[181:182], s[16:17], -v[8:9]
	v_add_f64 v[175:176], v[183:184], v[187:188]
	v_add_f64 v[8:9], v[8:9], v[106:107]
	v_add_f64 v[118:119], v[118:119], v[175:176]
	v_mul_f64 v[175:176], v[205:206], s[24:25]
	v_add_f64 v[8:9], v[114:115], v[8:9]
	v_fma_f64 v[114:115], v[211:212], s[28:29], v[126:127]
	v_fma_f64 v[128:129], v[193:194], s[20:21], -v[175:176]
	v_fma_f64 v[106:107], v[193:194], s[20:21], v[175:176]
	v_add_f64 v[104:105], v[128:129], v[104:105]
	v_fma_f64 v[128:129], v[223:224], s[22:23], v[124:125]
	v_fma_f64 v[124:125], v[223:224], s[22:23], -v[124:125]
	v_add_f64 v[223:224], v[6:7], v[4:5]
	v_add_f64 v[106:107], v[106:107], v[122:123]
	v_fma_f64 v[122:123], v[211:212], s[28:29], -v[126:127]
	v_add_f64 v[106:107], v[114:115], v[106:107]
	v_add_f64 v[104:105], v[122:123], v[104:105]
	s_waitcnt vmcnt(4)
	v_add_f64 v[112:113], v[21:22], v[42:43]
	buffer_load_dword v21, off, s[52:55], 0 offset:232 ; 4-byte Folded Reload
	buffer_load_dword v22, off, s[52:55], 0 offset:236 ; 4-byte Folded Reload
	;; [unrolled: 1-line block ×7, first 2 shown]
	buffer_load_dword v4, off, s[52:55], 0  ; 4-byte Folded Reload
	v_add_f64 v[2:3], v[112:113], v[2:3]
	v_mul_f64 v[112:113], v[221:222], s[38:39]
	s_waitcnt vmcnt(4)
	v_add_f64 v[116:117], v[21:22], v[28:29]
	s_waitcnt vmcnt(1)
	v_add_f64 v[14:15], v[200:201], v[0:1]
	v_mul_f64 v[0:1], v[235:236], s[26:27]
	s_waitcnt vmcnt(0)
	v_lshlrev_b32_e32 v4, 4, v4
	v_add_f64 v[116:117], v[116:117], v[2:3]
	v_fma_f64 v[2:3], v[213:214], s[28:29], v[112:113]
	v_fma_f64 v[112:113], v[213:214], s[28:29], -v[112:113]
	v_fma_f64 v[126:127], v[227:228], s[22:23], -v[0:1]
	v_fma_f64 v[114:115], v[227:228], s[22:23], v[0:1]
	v_add_f64 v[0:1], v[120:121], v[17:18]
	v_add_f64 v[118:119], v[2:3], v[118:119]
	v_add_f64 v[8:9], v[112:113], v[8:9]
	v_add_f64 v[2:3], v[110:111], v[19:20]
	v_add_f64 v[110:111], v[128:129], v[106:107]
	v_add_f64 v[106:107], v[14:15], v[116:117]
	v_add_f64 v[116:117], v[114:115], v[118:119]
	v_add_f64 v[112:113], v[126:127], v[8:9]
	ds_write_b128 v4, v[0:3]
	ds_write_b128 v4, v[110:113] offset:16
	ds_write_b128 v4, v[106:109] offset:32
	;; [unrolled: 1-line block ×5, first 2 shown]
	buffer_load_dword v231, off, s[52:55], 0 offset:132 ; 4-byte Folded Reload
	buffer_load_dword v232, off, s[52:55], 0 offset:136 ; 4-byte Folded Reload
	;; [unrolled: 1-line block ×4, first 2 shown]
	ds_write_b128 v4, v[68:71] offset:96
	buffer_load_dword v0, off, s[52:55], 0 offset:184 ; 4-byte Folded Reload
	buffer_load_dword v1, off, s[52:55], 0 offset:188 ; 4-byte Folded Reload
	;; [unrolled: 1-line block ×4, first 2 shown]
	v_add_f64 v[114:115], v[124:125], v[104:105]
	s_waitcnt vmcnt(0)
	ds_write_b128 v4, v[0:3] offset:112
	ds_write_b128 v4, v[72:75] offset:128
	;; [unrolled: 1-line block ×3, first 2 shown]
	buffer_load_dword v237, off, s[52:55], 0 offset:148 ; 4-byte Folded Reload
	buffer_load_dword v238, off, s[52:55], 0 offset:152 ; 4-byte Folded Reload
	;; [unrolled: 1-line block ×4, first 2 shown]
	ds_write_b128 v4, v[156:159] offset:160
	ds_write_b128 v4, v[152:155] offset:176
	;; [unrolled: 1-line block ×3, first 2 shown]
.LBB0_17:
	s_or_b64 exec, exec, s[36:37]
	s_waitcnt vmcnt(0) lgkmcnt(0)
	s_barrier
	ds_read_b128 v[0:3], v164
	ds_read_b128 v[104:107], v164 offset:3120
	ds_read_b128 v[108:111], v164 offset:6240
	;; [unrolled: 1-line block ×7, first 2 shown]
	s_waitcnt lgkmcnt(5)
	v_mul_f64 v[6:7], v[249:250], v[108:109]
	s_waitcnt lgkmcnt(3)
	v_mul_f64 v[8:9], v[26:27], v[118:119]
	v_mul_f64 v[10:11], v[26:27], v[116:117]
	ds_read_b128 v[132:135], v164 offset:24960
	ds_read_b128 v[136:139], v164 offset:28080
	buffer_load_dword v28, off, s[52:55], 0 offset:20 ; 4-byte Folded Reload
	buffer_load_dword v29, off, s[52:55], 0 offset:24 ; 4-byte Folded Reload
	;; [unrolled: 1-line block ×4, first 2 shown]
	v_mul_f64 v[4:5], v[249:250], v[110:111]
	s_waitcnt lgkmcnt(3)
	v_mul_f64 v[12:13], v[245:246], v[126:127]
	s_waitcnt lgkmcnt(1)
	v_mul_f64 v[22:23], v[233:234], v[132:133]
	v_fma_f64 v[20:21], v[247:248], v[110:111], -v[6:7]
	v_fma_f64 v[6:7], v[24:25], v[116:117], v[8:9]
	v_fma_f64 v[10:11], v[24:25], v[118:119], -v[10:11]
	buffer_load_dword v24, off, s[52:55], 0 offset:4 ; 4-byte Folded Reload
	buffer_load_dword v25, off, s[52:55], 0 offset:8 ; 4-byte Folded Reload
	;; [unrolled: 1-line block ×4, first 2 shown]
	v_mul_f64 v[14:15], v[245:246], v[124:125]
	v_fma_f64 v[18:19], v[247:248], v[108:109], v[4:5]
	v_mul_f64 v[4:5], v[233:234], v[134:135]
	v_fma_f64 v[12:13], v[243:244], v[124:125], v[12:13]
	v_fma_f64 v[22:23], v[231:232], v[134:135], -v[22:23]
	s_mov_b32 s8, 0x134454ff
	s_mov_b32 s9, 0xbfee6f0e
	;; [unrolled: 1-line block ×3, first 2 shown]
	v_fma_f64 v[14:15], v[243:244], v[126:127], -v[14:15]
	v_add_f64 v[68:69], v[0:1], v[18:19]
	v_fma_f64 v[16:17], v[231:232], v[132:133], v[4:5]
	v_add_f64 v[70:71], v[6:7], v[12:13]
	v_add_f64 v[110:111], v[18:19], -v[6:7]
	s_mov_b32 s21, 0xbfe2cf23
	s_mov_b32 s11, 0x3fee6f0e
	;; [unrolled: 1-line block ×3, first 2 shown]
	v_add_f64 v[108:109], v[10:11], -v[14:15]
	s_mov_b32 s17, 0x3fe2cf23
	s_mov_b32 s16, s20
	;; [unrolled: 1-line block ×4, first 2 shown]
	s_waitcnt vmcnt(0) lgkmcnt(0)
	s_barrier
	s_mov_b32 s22, 0x9b97f4a8
	s_mov_b32 s23, 0x3fe9e377
	v_mul_f64 v[8:9], v[30:31], v[114:115]
	v_mul_f64 v[4:5], v[30:31], v[112:113]
	;; [unrolled: 1-line block ×4, first 2 shown]
	v_fma_f64 v[72:73], v[28:29], v[112:113], v[8:9]
	v_mul_f64 v[8:9], v[253:254], v[130:131]
	v_fma_f64 v[32:33], v[28:29], v[114:115], -v[4:5]
	v_add_f64 v[4:5], v[68:69], v[6:7]
	v_add_f64 v[68:69], v[20:21], -v[22:23]
	v_add_f64 v[112:113], v[16:17], -v[12:13]
	v_fma_f64 v[28:29], v[24:25], v[122:123], -v[30:31]
	v_fma_f64 v[30:31], v[70:71], -0.5, v[0:1]
	v_fma_f64 v[34:35], v[24:25], v[120:121], v[34:35]
	v_fma_f64 v[70:71], v[251:252], v[128:129], v[8:9]
	v_mul_f64 v[8:9], v[239:240], v[138:139]
	v_mul_f64 v[24:25], v[239:240], v[136:137]
	v_add_f64 v[114:115], v[18:19], v[16:17]
	v_add_f64 v[4:5], v[4:5], v[12:13]
	v_add_f64 v[120:121], v[12:13], -v[16:17]
	v_fma_f64 v[74:75], v[68:69], s[8:9], v[30:31]
	v_fma_f64 v[30:31], v[68:69], s[10:11], v[30:31]
	v_mul_f64 v[26:27], v[253:254], v[128:129]
	v_fma_f64 v[116:117], v[237:238], v[136:137], v[8:9]
	v_fma_f64 v[118:119], v[237:238], v[138:139], -v[24:25]
	v_add_f64 v[24:25], v[110:111], v[112:113]
	v_fma_f64 v[0:1], v[114:115], -0.5, v[0:1]
	v_add_f64 v[110:111], v[10:11], v[14:15]
	v_fma_f64 v[8:9], v[108:109], s[20:21], v[74:75]
	v_add_f64 v[74:75], v[2:3], v[20:21]
	v_add_f64 v[114:115], v[6:7], -v[18:19]
	v_fma_f64 v[30:31], v[108:109], s[16:17], v[30:31]
	v_add_f64 v[18:19], v[18:19], -v[16:17]
	v_add_f64 v[4:5], v[4:5], v[16:17]
	v_fma_f64 v[112:113], v[108:109], s[10:11], v[0:1]
	v_fma_f64 v[108:109], v[108:109], s[8:9], v[0:1]
	v_fma_f64 v[110:111], v[110:111], -0.5, v[2:3]
	v_add_f64 v[74:75], v[74:75], v[10:11]
	v_fma_f64 v[0:1], v[24:25], s[18:19], v[8:9]
	v_fma_f64 v[8:9], v[24:25], s[18:19], v[30:31]
	v_fma_f64 v[26:27], v[251:252], v[130:131], -v[26:27]
	v_add_f64 v[122:123], v[22:23], -v[14:15]
	v_fma_f64 v[16:17], v[68:69], s[20:21], v[112:113]
	v_add_f64 v[112:113], v[114:115], v[120:121]
	v_fma_f64 v[24:25], v[68:69], s[16:17], v[108:109]
	v_add_f64 v[30:31], v[74:75], v[14:15]
	v_add_f64 v[68:69], v[20:21], v[22:23]
	v_fma_f64 v[74:75], v[18:19], s[10:11], v[110:111]
	v_add_f64 v[108:109], v[6:7], -v[12:13]
	v_add_f64 v[114:115], v[34:35], v[70:71]
	v_add_f64 v[120:121], v[20:21], -v[10:11]
	v_fma_f64 v[12:13], v[112:113], s[18:19], v[16:17]
	v_fma_f64 v[16:17], v[112:113], s[18:19], v[24:25]
	v_add_f64 v[6:7], v[30:31], v[22:23]
	v_fma_f64 v[2:3], v[68:69], -0.5, v[2:3]
	v_add_f64 v[30:31], v[104:105], v[72:73]
	v_fma_f64 v[24:25], v[108:109], s[16:17], v[74:75]
	v_fma_f64 v[68:69], v[114:115], -0.5, v[104:105]
	v_add_f64 v[74:75], v[32:33], -v[118:119]
	v_fma_f64 v[110:111], v[18:19], s[8:9], v[110:111]
	v_add_f64 v[112:113], v[120:121], v[122:123]
	v_add_f64 v[10:11], v[10:11], -v[20:21]
	v_add_f64 v[14:15], v[14:15], -v[22:23]
	v_add_f64 v[20:21], v[30:31], v[34:35]
	v_add_f64 v[30:31], v[28:29], -v[26:27]
	v_add_f64 v[120:121], v[72:73], -v[34:35]
	v_fma_f64 v[22:23], v[74:75], s[8:9], v[68:69]
	v_add_f64 v[122:123], v[116:117], -v[70:71]
	v_fma_f64 v[114:115], v[108:109], s[8:9], v[2:3]
	v_fma_f64 v[2:3], v[108:109], s[10:11], v[2:3]
	;; [unrolled: 1-line block ×3, first 2 shown]
	v_add_f64 v[110:111], v[72:73], v[116:117]
	v_add_f64 v[124:125], v[10:11], v[14:15]
	;; [unrolled: 1-line block ×3, first 2 shown]
	v_fma_f64 v[22:23], v[30:31], s[20:21], v[22:23]
	v_add_f64 v[120:121], v[120:121], v[122:123]
	v_fma_f64 v[114:115], v[18:19], s[16:17], v[114:115]
	v_fma_f64 v[18:19], v[18:19], s[20:21], v[2:3]
	;; [unrolled: 1-line block ×3, first 2 shown]
	v_add_f64 v[108:109], v[28:29], v[26:27]
	v_fma_f64 v[2:3], v[112:113], s[18:19], v[24:25]
	v_add_f64 v[112:113], v[32:33], v[118:119]
	v_fma_f64 v[104:105], v[110:111], -0.5, v[104:105]
	v_fma_f64 v[24:25], v[120:121], s[18:19], v[22:23]
	v_fma_f64 v[22:23], v[74:75], s[10:11], v[68:69]
	v_add_f64 v[122:123], v[106:107], v[32:33]
	v_fma_f64 v[14:15], v[124:125], s[18:19], v[114:115]
	v_add_f64 v[110:111], v[34:35], -v[72:73]
	v_add_f64 v[114:115], v[70:71], -v[116:117]
	v_fma_f64 v[108:109], v[108:109], -0.5, v[106:107]
	v_add_f64 v[72:73], v[72:73], -v[116:117]
	v_add_f64 v[34:35], v[34:35], -v[70:71]
	v_fma_f64 v[70:71], v[112:113], -0.5, v[106:107]
	v_fma_f64 v[68:69], v[30:31], s[10:11], v[104:105]
	v_fma_f64 v[22:23], v[30:31], s[16:17], v[22:23]
	;; [unrolled: 1-line block ×3, first 2 shown]
	v_add_f64 v[104:105], v[122:123], v[28:29]
	v_add_f64 v[106:107], v[110:111], v[114:115]
	v_fma_f64 v[110:111], v[72:73], s[10:11], v[108:109]
	v_add_f64 v[112:113], v[32:33], -v[28:29]
	v_add_f64 v[114:115], v[118:119], -v[26:27]
	v_add_f64 v[20:21], v[20:21], v[116:117]
	v_fma_f64 v[108:109], v[72:73], s[8:9], v[108:109]
	v_fma_f64 v[116:117], v[34:35], s[8:9], v[70:71]
	v_add_f64 v[28:29], v[28:29], -v[32:33]
	v_add_f64 v[32:33], v[26:27], -v[118:119]
	v_fma_f64 v[70:71], v[34:35], s[10:11], v[70:71]
	v_add_f64 v[26:27], v[104:105], v[26:27]
	v_fma_f64 v[68:69], v[74:75], s[20:21], v[68:69]
	v_fma_f64 v[30:31], v[74:75], s[16:17], v[30:31]
	;; [unrolled: 1-line block ×3, first 2 shown]
	v_add_f64 v[110:111], v[112:113], v[114:115]
	v_fma_f64 v[34:35], v[34:35], s[20:21], v[108:109]
	v_fma_f64 v[108:109], v[72:73], s[16:17], v[116:117]
	v_add_f64 v[112:113], v[28:29], v[32:33]
	v_fma_f64 v[70:71], v[72:73], s[20:21], v[70:71]
	v_fma_f64 v[18:19], v[124:125], s[18:19], v[18:19]
	;; [unrolled: 1-line block ×3, first 2 shown]
	v_add_f64 v[22:23], v[26:27], v[118:119]
	v_fma_f64 v[26:27], v[110:111], s[18:19], v[74:75]
	v_fma_f64 v[32:33], v[106:107], s[18:19], v[68:69]
	;; [unrolled: 1-line block ×6, first 2 shown]
	ds_write_b128 v183, v[4:7]
	ds_write_b128 v183, v[0:3] offset:208
	ds_write_b128 v183, v[12:15] offset:416
	ds_write_b128 v183, v[16:19] offset:624
	ds_write_b128 v183, v[8:11] offset:832
	ds_write_b128 v204, v[20:23]
	ds_write_b128 v204, v[24:27] offset:208
	ds_write_b128 v204, v[32:35] offset:416
	;; [unrolled: 1-line block ×4, first 2 shown]
	s_waitcnt lgkmcnt(0)
	s_barrier
	ds_read_b128 v[0:3], v164 offset:3120
	ds_read_b128 v[4:7], v164
	ds_read_b128 v[8:11], v164 offset:6240
	ds_read_b128 v[12:15], v164 offset:9360
	buffer_load_dword v40, off, s[52:55], 0 offset:68 ; 4-byte Folded Reload
	buffer_load_dword v41, off, s[52:55], 0 offset:72 ; 4-byte Folded Reload
	;; [unrolled: 1-line block ×4, first 2 shown]
	ds_read_b128 v[16:19], v164 offset:12480
	ds_read_b128 v[20:23], v164 offset:15600
	;; [unrolled: 1-line block ×6, first 2 shown]
	buffer_load_dword v36, off, s[52:55], 0 offset:36 ; 4-byte Folded Reload
	buffer_load_dword v37, off, s[52:55], 0 offset:40 ; 4-byte Folded Reload
	;; [unrolled: 1-line block ×4, first 2 shown]
	s_waitcnt lgkmcnt(7)
	v_mul_f64 v[70:71], v[78:79], v[10:11]
	s_waitcnt vmcnt(4)
	v_mul_f64 v[68:69], v[42:43], v[2:3]
	v_mul_f64 v[46:47], v[42:43], v[0:1]
	s_waitcnt vmcnt(0) lgkmcnt(5)
	v_mul_f64 v[72:73], v[38:39], v[18:19]
	v_mul_f64 v[38:39], v[38:39], v[16:17]
	v_fma_f64 v[0:1], v[40:41], v[0:1], v[68:69]
	v_fma_f64 v[2:3], v[40:41], v[2:3], -v[46:47]
	buffer_load_dword v40, off, s[52:55], 0 offset:52 ; 4-byte Folded Reload
	buffer_load_dword v41, off, s[52:55], 0 offset:56 ; 4-byte Folded Reload
	;; [unrolled: 1-line block ×8, first 2 shown]
	v_mul_f64 v[68:69], v[78:79], v[8:9]
	v_fma_f64 v[8:9], v[76:77], v[8:9], v[70:71]
	v_mul_f64 v[46:47], v[66:67], v[14:15]
	v_fma_f64 v[16:17], v[36:37], v[16:17], v[72:73]
	v_fma_f64 v[18:19], v[36:37], v[18:19], -v[38:39]
	v_mul_f64 v[66:67], v[66:67], v[12:13]
	s_waitcnt lgkmcnt(4)
	v_mul_f64 v[36:37], v[58:59], v[20:21]
	s_waitcnt lgkmcnt(0)
	v_fma_f64 v[10:11], v[76:77], v[10:11], -v[68:69]
	v_mul_f64 v[68:69], v[58:59], v[22:23]
	v_fma_f64 v[12:13], v[64:65], v[12:13], v[46:47]
	s_waitcnt vmcnt(0)
	s_barrier
	v_fma_f64 v[14:15], v[64:65], v[14:15], -v[66:67]
	v_fma_f64 v[22:23], v[56:57], v[22:23], -v[36:37]
	v_add_f64 v[36:37], v[4:5], v[8:9]
	v_fma_f64 v[20:21], v[56:57], v[20:21], v[68:69]
	v_add_f64 v[56:57], v[16:17], -v[8:9]
	v_add_f64 v[64:65], v[14:15], -v[22:23]
	v_add_f64 v[36:37], v[36:37], v[16:17]
	v_mul_f64 v[44:45], v[42:43], v[26:27]
	v_mul_f64 v[70:71], v[50:51], v[32:33]
	;; [unrolled: 1-line block ×4, first 2 shown]
	v_fma_f64 v[44:45], v[40:41], v[24:25], v[44:45]
	v_fma_f64 v[34:35], v[48:49], v[34:35], -v[70:71]
	v_mul_f64 v[24:25], v[42:43], v[24:25]
	v_fma_f64 v[32:33], v[48:49], v[32:33], v[38:39]
	v_mul_f64 v[42:43], v[54:55], v[30:31]
	v_add_f64 v[46:47], v[16:17], v[44:45]
	v_add_f64 v[36:37], v[36:37], v[44:45]
	v_fma_f64 v[24:25], v[40:41], v[26:27], -v[24:25]
	v_add_f64 v[40:41], v[8:9], v[32:33]
	v_fma_f64 v[26:27], v[52:53], v[28:29], v[42:43]
	v_fma_f64 v[28:29], v[52:53], v[30:31], -v[50:51]
	v_mul_f64 v[30:31], v[62:63], v[106:107]
	v_mul_f64 v[42:43], v[62:63], v[104:105]
	v_fma_f64 v[38:39], v[46:47], -0.5, v[4:5]
	v_add_f64 v[46:47], v[10:11], -v[34:35]
	v_add_f64 v[50:51], v[18:19], -v[24:25]
	;; [unrolled: 1-line block ×4, first 2 shown]
	v_fma_f64 v[4:5], v[40:41], -0.5, v[4:5]
	v_fma_f64 v[30:31], v[60:61], v[104:105], v[30:31]
	v_fma_f64 v[40:41], v[60:61], v[106:107], -v[42:43]
	v_add_f64 v[42:43], v[18:19], v[24:25]
	v_fma_f64 v[48:49], v[46:47], s[8:9], v[38:39]
	v_fma_f64 v[38:39], v[46:47], s[10:11], v[38:39]
	v_add_f64 v[58:59], v[44:45], -v[32:33]
	v_add_f64 v[52:53], v[52:53], v[54:55]
	v_fma_f64 v[54:55], v[50:51], s[10:11], v[4:5]
	v_add_f64 v[60:61], v[6:7], v[10:11]
	v_fma_f64 v[4:5], v[50:51], s[8:9], v[4:5]
	v_fma_f64 v[42:43], v[42:43], -0.5, v[6:7]
	v_fma_f64 v[48:49], v[50:51], s[20:21], v[48:49]
	v_fma_f64 v[38:39], v[50:51], s[16:17], v[38:39]
	v_add_f64 v[8:9], v[8:9], -v[32:33]
	v_add_f64 v[32:33], v[36:37], v[32:33]
	v_add_f64 v[16:17], v[16:17], -v[44:45]
	v_add_f64 v[50:51], v[60:61], v[18:19]
	v_fma_f64 v[4:5], v[46:47], s[16:17], v[4:5]
	v_add_f64 v[44:45], v[10:11], -v[18:19]
	v_fma_f64 v[36:37], v[52:53], s[18:19], v[48:49]
	v_fma_f64 v[38:39], v[52:53], s[18:19], v[38:39]
	;; [unrolled: 1-line block ×3, first 2 shown]
	v_add_f64 v[52:53], v[56:57], v[58:59]
	v_fma_f64 v[54:55], v[8:9], s[10:11], v[42:43]
	v_add_f64 v[56:57], v[34:35], -v[24:25]
	v_fma_f64 v[42:43], v[8:9], s[8:9], v[42:43]
	v_add_f64 v[58:59], v[10:11], v[34:35]
	v_add_f64 v[46:47], v[50:51], v[24:25]
	v_add_f64 v[50:51], v[20:21], v[26:27]
	v_add_f64 v[10:11], v[18:19], -v[10:11]
	v_fma_f64 v[48:49], v[52:53], s[18:19], v[48:49]
	v_fma_f64 v[52:53], v[52:53], s[18:19], v[4:5]
	v_add_f64 v[4:5], v[0:1], v[12:13]
	v_fma_f64 v[54:55], v[16:17], s[16:17], v[54:55]
	v_add_f64 v[44:45], v[44:45], v[56:57]
	v_fma_f64 v[42:43], v[16:17], s[20:21], v[42:43]
	v_fma_f64 v[6:7], v[58:59], -0.5, v[6:7]
	v_fma_f64 v[50:51], v[50:51], -0.5, v[0:1]
	v_add_f64 v[56:57], v[14:15], -v[40:41]
	v_add_f64 v[46:47], v[46:47], v[34:35]
	v_add_f64 v[4:5], v[4:5], v[20:21]
	v_add_f64 v[18:19], v[24:25], -v[34:35]
	v_fma_f64 v[54:55], v[44:45], s[18:19], v[54:55]
	v_fma_f64 v[42:43], v[44:45], s[18:19], v[42:43]
	;; [unrolled: 1-line block ×5, first 2 shown]
	v_add_f64 v[24:25], v[22:23], -v[28:29]
	v_add_f64 v[34:35], v[12:13], -v[20:21]
	;; [unrolled: 1-line block ×3, first 2 shown]
	v_add_f64 v[60:61], v[12:13], v[30:31]
	v_add_f64 v[62:63], v[22:23], v[28:29]
	;; [unrolled: 1-line block ×3, first 2 shown]
	v_fma_f64 v[44:45], v[8:9], s[16:17], v[44:45]
	v_add_f64 v[10:11], v[10:11], v[18:19]
	v_fma_f64 v[6:7], v[8:9], s[20:21], v[6:7]
	v_fma_f64 v[8:9], v[24:25], s[20:21], v[16:17]
	v_add_f64 v[16:17], v[34:35], v[58:59]
	v_fma_f64 v[0:1], v[60:61], -0.5, v[0:1]
	v_fma_f64 v[18:19], v[56:57], s[10:11], v[50:51]
	v_fma_f64 v[34:35], v[62:63], -0.5, v[2:3]
	v_add_f64 v[50:51], v[12:13], -v[30:31]
	v_add_f64 v[60:61], v[4:5], v[30:31]
	v_add_f64 v[4:5], v[14:15], v[40:41]
	v_fma_f64 v[44:45], v[10:11], s[18:19], v[44:45]
	v_fma_f64 v[58:59], v[10:11], s[18:19], v[6:7]
	;; [unrolled: 1-line block ×4, first 2 shown]
	v_add_f64 v[62:63], v[20:21], -v[26:27]
	v_fma_f64 v[18:19], v[50:51], s[10:11], v[34:35]
	v_add_f64 v[66:67], v[40:41], -v[28:29]
	v_fma_f64 v[4:5], v[4:5], -0.5, v[2:3]
	v_add_f64 v[2:3], v[2:3], v[14:15]
	v_fma_f64 v[6:7], v[24:25], s[10:11], v[0:1]
	v_add_f64 v[12:13], v[20:21], -v[12:13]
	v_add_f64 v[20:21], v[26:27], -v[30:31]
	v_fma_f64 v[0:1], v[24:25], s[8:9], v[0:1]
	v_fma_f64 v[18:19], v[62:63], s[16:17], v[18:19]
	v_add_f64 v[24:25], v[64:65], v[66:67]
	v_fma_f64 v[26:27], v[62:63], s[8:9], v[4:5]
	v_add_f64 v[14:15], v[22:23], -v[14:15]
	v_add_f64 v[30:31], v[28:29], -v[40:41]
	v_fma_f64 v[4:5], v[62:63], s[10:11], v[4:5]
	v_add_f64 v[2:3], v[2:3], v[22:23]
	v_fma_f64 v[22:23], v[50:51], s[8:9], v[34:35]
	v_fma_f64 v[6:7], v[56:57], s[20:21], v[6:7]
	v_add_f64 v[12:13], v[12:13], v[20:21]
	v_fma_f64 v[0:1], v[56:57], s[16:17], v[0:1]
	v_fma_f64 v[18:19], v[24:25], s[18:19], v[18:19]
	;; [unrolled: 1-line block ×3, first 2 shown]
	v_add_f64 v[14:15], v[14:15], v[30:31]
	v_fma_f64 v[4:5], v[50:51], s[20:21], v[4:5]
	v_fma_f64 v[22:23], v[62:63], s[20:21], v[22:23]
	;; [unrolled: 1-line block ×5, first 2 shown]
	v_mul_f64 v[8:9], v[18:19], s[20:21]
	v_add_f64 v[2:3], v[2:3], v[28:29]
	v_fma_f64 v[12:13], v[14:15], s[18:19], v[20:21]
	v_fma_f64 v[14:15], v[14:15], s[18:19], v[4:5]
	v_fma_f64 v[20:21], v[24:25], s[18:19], v[22:23]
	v_mul_f64 v[18:19], v[18:19], s[22:23]
	v_add_f64 v[4:5], v[32:33], v[60:61]
	v_fma_f64 v[26:27], v[10:11], s[22:23], v[8:9]
	v_add_f64 v[2:3], v[2:3], v[40:41]
	v_mul_f64 v[8:9], v[12:13], s[8:9]
	v_mul_f64 v[22:23], v[14:15], s[8:9]
	s_mov_b32 s9, 0xbfd3c6ef
	s_mov_b32 s8, s18
	v_mul_f64 v[12:13], v[12:13], s[18:19]
	v_mul_f64 v[24:25], v[20:21], s[20:21]
	s_mov_b32 s21, 0xbfe9e377
	s_mov_b32 s20, s22
	v_mul_f64 v[14:15], v[14:15], s[8:9]
	v_mul_f64 v[20:21], v[20:21], s[20:21]
	v_fma_f64 v[50:51], v[10:11], s[16:17], v[18:19]
	v_fma_f64 v[30:31], v[6:7], s[18:19], v[8:9]
	;; [unrolled: 1-line block ×5, first 2 shown]
	v_add_f64 v[6:7], v[46:47], v[2:3]
	v_fma_f64 v[62:63], v[0:1], s[10:11], v[14:15]
	v_fma_f64 v[64:65], v[16:17], s[16:17], v[20:21]
	v_add_f64 v[8:9], v[36:37], v[26:27]
	v_add_f64 v[10:11], v[54:55], v[50:51]
	;; [unrolled: 1-line block ×8, first 2 shown]
	v_add_f64 v[24:25], v[32:33], -v[60:61]
	v_add_f64 v[28:29], v[36:37], -v[26:27]
	;; [unrolled: 1-line block ×10, first 2 shown]
	ds_write_b128 v199, v[4:7]
	ds_write_b128 v199, v[8:11] offset:1040
	ds_write_b128 v199, v[12:15] offset:2080
	;; [unrolled: 1-line block ×9, first 2 shown]
	s_waitcnt lgkmcnt(0)
	s_barrier
	ds_read_b128 v[12:15], v164
	ds_read_b128 v[8:11], v164 offset:3120
	ds_read_b128 v[32:35], v164 offset:20800
	;; [unrolled: 1-line block ×8, first 2 shown]
	s_and_saveexec_b64 s[8:9], s[2:3]
	s_cbranch_execz .LBB0_19
; %bb.18:
	ds_read_b128 v[0:3], v164 offset:9360
	ds_read_b128 v[156:159], v164 offset:19760
	;; [unrolled: 1-line block ×3, first 2 shown]
.LBB0_19:
	s_or_b64 exec, exec, s[8:9]
	s_waitcnt lgkmcnt(4)
	v_mul_f64 v[40:41], v[82:83], v[38:39]
	v_mul_f64 v[42:43], v[86:87], v[34:35]
	;; [unrolled: 1-line block ×4, first 2 shown]
	s_waitcnt lgkmcnt(2)
	v_mul_f64 v[48:49], v[90:91], v[30:31]
	v_mul_f64 v[52:53], v[94:95], v[22:23]
	;; [unrolled: 1-line block ×3, first 2 shown]
	s_waitcnt lgkmcnt(0)
	v_mul_f64 v[58:59], v[98:99], v[16:17]
	v_fma_f64 v[36:37], v[80:81], v[36:37], v[40:41]
	v_fma_f64 v[32:33], v[84:85], v[32:33], v[42:43]
	v_fma_f64 v[38:39], v[80:81], v[38:39], -v[44:45]
	v_fma_f64 v[34:35], v[84:85], v[34:35], -v[46:47]
	v_mul_f64 v[40:41], v[94:95], v[20:21]
	v_mul_f64 v[42:43], v[102:103], v[26:27]
	v_fma_f64 v[46:47], v[88:89], v[28:29], v[48:49]
	v_fma_f64 v[48:49], v[92:93], v[20:21], v[52:53]
	v_mul_f64 v[54:55], v[102:103], v[24:25]
	v_mul_f64 v[56:57], v[98:99], v[18:19]
	v_add_f64 v[44:45], v[36:37], v[32:33]
	v_add_f64 v[20:21], v[12:13], v[36:37]
	;; [unrolled: 1-line block ×3, first 2 shown]
	v_fma_f64 v[30:31], v[88:89], v[30:31], -v[50:51]
	v_fma_f64 v[40:41], v[92:93], v[22:23], -v[40:41]
	v_fma_f64 v[42:43], v[100:101], v[24:25], v[42:43]
	v_add_f64 v[24:25], v[38:39], -v[34:35]
	v_add_f64 v[38:39], v[14:15], v[38:39]
	v_fma_f64 v[50:51], v[96:97], v[18:19], -v[58:59]
	v_add_f64 v[18:19], v[46:47], v[48:49]
	v_fma_f64 v[26:27], v[100:101], v[26:27], -v[54:55]
	v_fma_f64 v[22:23], v[44:45], -0.5, v[12:13]
	v_fma_f64 v[44:45], v[96:97], v[16:17], v[56:57]
	v_add_f64 v[12:13], v[20:21], v[32:33]
	v_fma_f64 v[28:29], v[28:29], -0.5, v[14:15]
	v_add_f64 v[32:33], v[36:37], -v[32:33]
	v_add_f64 v[36:37], v[8:9], v[46:47]
	v_add_f64 v[14:15], v[38:39], v[34:35]
	;; [unrolled: 1-line block ×3, first 2 shown]
	s_mov_b32 s8, 0xe8584caa
	s_mov_b32 s9, 0xbfebb67a
	;; [unrolled: 1-line block ×4, first 2 shown]
	v_fma_f64 v[52:53], v[18:19], -0.5, v[8:9]
	v_add_f64 v[54:55], v[30:31], -v[40:41]
	v_fma_f64 v[16:17], v[24:25], s[8:9], v[22:23]
	v_fma_f64 v[20:21], v[24:25], s[10:11], v[22:23]
	;; [unrolled: 1-line block ×4, first 2 shown]
	v_add_f64 v[8:9], v[36:37], v[48:49]
	v_add_f64 v[32:33], v[42:43], v[44:45]
	;; [unrolled: 1-line block ×4, first 2 shown]
	v_fma_f64 v[34:35], v[34:35], -0.5, v[10:11]
	v_add_f64 v[38:39], v[46:47], -v[48:49]
	v_fma_f64 v[24:25], v[54:55], s[8:9], v[52:53]
	v_fma_f64 v[28:29], v[54:55], s[10:11], v[52:53]
	v_add_f64 v[46:47], v[4:5], v[42:43]
	v_add_f64 v[54:55], v[6:7], v[26:27]
	v_fma_f64 v[48:49], v[32:33], -0.5, v[4:5]
	v_add_f64 v[52:53], v[26:27], -v[50:51]
	v_fma_f64 v[56:57], v[36:37], -0.5, v[6:7]
	v_add_f64 v[42:43], v[42:43], -v[44:45]
	v_add_f64 v[10:11], v[30:31], v[40:41]
	v_fma_f64 v[26:27], v[38:39], s[10:11], v[34:35]
	v_fma_f64 v[30:31], v[38:39], s[8:9], v[34:35]
	v_add_f64 v[4:5], v[46:47], v[44:45]
	v_add_f64 v[6:7], v[54:55], v[50:51]
	v_fma_f64 v[32:33], v[52:53], s[8:9], v[48:49]
	v_fma_f64 v[36:37], v[52:53], s[10:11], v[48:49]
	;; [unrolled: 1-line block ×4, first 2 shown]
	ds_write_b128 v164, v[12:15]
	ds_write_b128 v164, v[16:19] offset:10400
	ds_write_b128 v164, v[20:23] offset:20800
	ds_write_b128 v164, v[8:11] offset:3120
	ds_write_b128 v164, v[24:27] offset:13520
	ds_write_b128 v164, v[28:31] offset:23920
	ds_write_b128 v164, v[4:7] offset:6240
	ds_write_b128 v164, v[32:35] offset:16640
	ds_write_b128 v164, v[36:39] offset:27040
	s_and_saveexec_b64 s[16:17], s[2:3]
	s_cbranch_execz .LBB0_21
; %bb.20:
	buffer_load_dword v12, off, s[52:55], 0 offset:100 ; 4-byte Folded Reload
	buffer_load_dword v13, off, s[52:55], 0 offset:104 ; 4-byte Folded Reload
	;; [unrolled: 1-line block ×8, first 2 shown]
	s_waitcnt vmcnt(4)
	v_mul_f64 v[4:5], v[14:15], v[156:157]
	s_waitcnt vmcnt(0)
	v_mul_f64 v[6:7], v[18:19], v[152:153]
	v_mul_f64 v[8:9], v[14:15], v[158:159]
	;; [unrolled: 1-line block ×3, first 2 shown]
	v_fma_f64 v[4:5], v[12:13], v[158:159], -v[4:5]
	v_fma_f64 v[6:7], v[16:17], v[154:155], -v[6:7]
	v_fma_f64 v[8:9], v[12:13], v[156:157], v[8:9]
	v_fma_f64 v[10:11], v[16:17], v[152:153], v[10:11]
	v_add_f64 v[18:19], v[2:3], v[4:5]
	v_add_f64 v[12:13], v[4:5], v[6:7]
	v_add_f64 v[4:5], v[4:5], -v[6:7]
	v_add_f64 v[14:15], v[8:9], v[10:11]
	v_add_f64 v[16:17], v[8:9], -v[10:11]
	v_add_f64 v[8:9], v[0:1], v[8:9]
	v_fma_f64 v[12:13], v[12:13], -0.5, v[2:3]
	v_add_f64 v[2:3], v[18:19], v[6:7]
	v_fma_f64 v[14:15], v[14:15], -0.5, v[0:1]
	v_add_f64 v[0:1], v[8:9], v[10:11]
	v_fma_f64 v[10:11], v[16:17], s[10:11], v[12:13]
	v_fma_f64 v[6:7], v[16:17], s[8:9], v[12:13]
	;; [unrolled: 1-line block ×4, first 2 shown]
	ds_write_b128 v164, v[0:3] offset:9360
	ds_write_b128 v164, v[8:11] offset:19760
	;; [unrolled: 1-line block ×3, first 2 shown]
.LBB0_21:
	s_or_b64 exec, exec, s[16:17]
	s_waitcnt lgkmcnt(0)
	s_barrier
	s_and_b64 exec, exec, s[0:1]
	s_cbranch_execz .LBB0_23
; %bb.22:
	v_mov_b32_e32 v1, s15
	v_add_co_u32_e32 v0, vcc, s14, v255
	v_addc_co_u32_e32 v1, vcc, 0, v1, vcc
	s_movk_i32 s0, 0x1000
	global_load_dwordx4 v[2:5], v255, s[14:15]
	global_load_dwordx4 v[6:9], v255, s[14:15] offset:2400
	v_add_co_u32_e32 v18, vcc, s0, v0
	v_addc_co_u32_e32 v19, vcc, 0, v1, vcc
	global_load_dwordx4 v[10:13], v[18:19], off offset:704
	global_load_dwordx4 v[14:17], v[18:19], off offset:3104
	v_mad_u64_u32 v[64:65], s[2:3], s4, v203, 0
	s_movk_i32 s2, 0x2000
	v_add_co_u32_e32 v42, vcc, s2, v0
	v_addc_co_u32_e32 v43, vcc, 0, v1, vcc
	global_load_dwordx4 v[22:25], v[42:43], off offset:1408
	ds_read_b128 v[18:21], v164
	ds_read_b128 v[26:29], v255 offset:2400
	ds_read_b128 v[30:33], v255 offset:4800
	;; [unrolled: 1-line block ×4, first 2 shown]
	global_load_dwordx4 v[42:45], v[42:43], off offset:3808
	v_mad_u64_u32 v[62:63], s[0:1], s6, v209, 0
	s_mul_hi_u32 s6, s4, 0x960
	s_mul_i32 s2, s4, 0x960
	s_movk_i32 s4, 0x3000
	v_add_co_u32_e32 v54, vcc, s4, v0
	s_movk_i32 s8, 0x4000
	v_addc_co_u32_e32 v55, vcc, 0, v1, vcc
	v_add_co_u32_e32 v66, vcc, s8, v0
	s_mul_i32 s3, s5, 0x960
	v_addc_co_u32_e32 v67, vcc, 0, v1, vcc
	global_load_dwordx4 v[46:49], v[54:55], off offset:2112
	global_load_dwordx4 v[50:53], v[66:67], off offset:416
	v_mov_b32_e32 v54, v63
	v_mov_b32_e32 v55, v65
	s_add_i32 s3, s6, s3
	v_mad_u64_u32 v[70:71], s[6:7], s7, v209, v[54:55]
	v_mad_u64_u32 v[71:72], s[4:5], s5, v203, v[55:56]
	s_movk_i32 s9, 0x5000
	v_mov_b32_e32 v63, v70
	v_add_co_u32_e32 v68, vcc, s9, v0
	v_lshlrev_b64 v[62:63], 4, v[62:63]
	v_addc_co_u32_e32 v69, vcc, 0, v1, vcc
	v_mov_b32_e32 v65, v71
	v_mov_b32_e32 v73, s13
	v_lshlrev_b64 v[64:65], 4, v[64:65]
	v_add_co_u32_e32 v62, vcc, s12, v62
	v_addc_co_u32_e32 v63, vcc, v73, v63, vcc
	v_add_co_u32_e32 v62, vcc, v62, v64
	v_addc_co_u32_e32 v63, vcc, v63, v65, vcc
	global_load_dwordx4 v[54:57], v[66:67], off offset:2816
	global_load_dwordx4 v[58:61], v[68:69], off offset:1120
	s_mov_b32 s0, 0xaa677344
	s_mov_b32 s1, 0x3f40cdd9
	v_mov_b32_e32 v74, s3
	v_add_co_u32_e32 v72, vcc, s2, v62
	v_addc_co_u32_e32 v73, vcc, v63, v74, vcc
	v_mov_b32_e32 v75, s3
	s_movk_i32 s4, 0x6000
	s_waitcnt vmcnt(9) lgkmcnt(4)
	v_mul_f64 v[64:65], v[20:21], v[4:5]
	v_mul_f64 v[4:5], v[18:19], v[4:5]
	s_waitcnt vmcnt(8) lgkmcnt(3)
	v_mul_f64 v[66:67], v[28:29], v[8:9]
	v_mul_f64 v[8:9], v[26:27], v[8:9]
	s_waitcnt vmcnt(7) lgkmcnt(2)
	v_mul_f64 v[70:71], v[32:33], v[12:13]
	v_mul_f64 v[12:13], v[30:31], v[12:13]
	v_fma_f64 v[18:19], v[18:19], v[2:3], v[64:65]
	v_fma_f64 v[4:5], v[2:3], v[20:21], -v[4:5]
	v_fma_f64 v[20:21], v[26:27], v[6:7], v[66:67]
	v_fma_f64 v[8:9], v[6:7], v[28:29], -v[8:9]
	s_waitcnt vmcnt(6) lgkmcnt(1)
	v_mul_f64 v[28:29], v[36:37], v[16:17]
	v_fma_f64 v[26:27], v[30:31], v[10:11], v[70:71]
	v_fma_f64 v[12:13], v[10:11], v[32:33], -v[12:13]
	v_mul_f64 v[16:17], v[34:35], v[16:17]
	v_mul_f64 v[2:3], v[18:19], s[0:1]
	;; [unrolled: 1-line block ×5, first 2 shown]
	v_fma_f64 v[18:19], v[34:35], v[14:15], v[28:29]
	v_mul_f64 v[10:11], v[26:27], s[0:1]
	v_mul_f64 v[12:13], v[12:13], s[0:1]
	v_add_co_u32_e32 v26, vcc, s2, v72
	v_addc_co_u32_e32 v27, vcc, v73, v75, vcc
	global_store_dwordx4 v[62:63], v[2:5], off
	global_store_dwordx4 v[72:73], v[6:9], off
	;; [unrolled: 1-line block ×3, first 2 shown]
	global_load_dwordx4 v[2:5], v[68:69], off offset:3520
	v_add_co_u32_e32 v6, vcc, s4, v0
	v_addc_co_u32_e32 v7, vcc, 0, v1, vcc
	global_load_dwordx4 v[6:9], v[6:7], off offset:1824
	v_fma_f64 v[12:13], v[14:15], v[36:37], -v[16:17]
	s_waitcnt vmcnt(10) lgkmcnt(0)
	v_mul_f64 v[20:21], v[40:41], v[24:25]
	v_mul_f64 v[24:25], v[38:39], v[24:25]
	ds_read_b128 v[14:17], v255 offset:12000
	v_mul_f64 v[10:11], v[18:19], s[0:1]
	v_mov_b32_e32 v32, s3
	v_add_co_u32_e32 v26, vcc, s2, v26
	v_mul_f64 v[12:13], v[12:13], s[0:1]
	v_fma_f64 v[28:29], v[38:39], v[22:23], v[20:21]
	ds_read_b128 v[18:21], v255 offset:14400
	v_fma_f64 v[22:23], v[22:23], v[40:41], -v[24:25]
	s_waitcnt vmcnt(9) lgkmcnt(1)
	v_mul_f64 v[24:25], v[16:17], v[44:45]
	v_mul_f64 v[30:31], v[14:15], v[44:45]
	v_addc_co_u32_e32 v27, vcc, v27, v32, vcc
	global_store_dwordx4 v[26:27], v[10:13], off
	v_add_co_u32_e32 v26, vcc, s2, v26
	v_mul_f64 v[10:11], v[28:29], s[0:1]
	v_mul_f64 v[12:13], v[22:23], s[0:1]
	v_fma_f64 v[14:15], v[14:15], v[42:43], v[24:25]
	v_fma_f64 v[16:17], v[42:43], v[16:17], -v[30:31]
	s_waitcnt vmcnt(9) lgkmcnt(0)
	v_mul_f64 v[22:23], v[20:21], v[48:49]
	v_mul_f64 v[24:25], v[18:19], v[48:49]
	v_mov_b32_e32 v28, s3
	v_addc_co_u32_e32 v27, vcc, v27, v28, vcc
	global_store_dwordx4 v[26:27], v[10:13], off
	v_add_co_u32_e32 v26, vcc, s2, v26
	v_mul_f64 v[10:11], v[14:15], s[0:1]
	v_mul_f64 v[12:13], v[16:17], s[0:1]
	ds_read_b128 v[14:17], v255 offset:16800
	v_fma_f64 v[22:23], v[18:19], v[46:47], v[22:23]
	v_fma_f64 v[24:25], v[46:47], v[20:21], -v[24:25]
	ds_read_b128 v[18:21], v255 offset:19200
	v_addc_co_u32_e32 v27, vcc, v27, v32, vcc
	s_waitcnt vmcnt(9) lgkmcnt(1)
	v_mul_f64 v[28:29], v[16:17], v[52:53]
	v_mul_f64 v[30:31], v[14:15], v[52:53]
	global_store_dwordx4 v[26:27], v[10:13], off
	v_add_co_u32_e32 v26, vcc, s2, v26
	v_mul_f64 v[10:11], v[22:23], s[0:1]
	v_mul_f64 v[12:13], v[24:25], s[0:1]
	s_waitcnt vmcnt(9) lgkmcnt(0)
	v_mul_f64 v[22:23], v[20:21], v[56:57]
	v_fma_f64 v[14:15], v[14:15], v[50:51], v[28:29]
	v_fma_f64 v[16:17], v[50:51], v[16:17], -v[30:31]
	v_mul_f64 v[24:25], v[18:19], v[56:57]
	v_addc_co_u32_e32 v27, vcc, v27, v32, vcc
	v_mov_b32_e32 v28, s3
	global_store_dwordx4 v[26:27], v[10:13], off
	v_fma_f64 v[18:19], v[18:19], v[54:55], v[22:23]
	v_mul_f64 v[10:11], v[14:15], s[0:1]
	v_mul_f64 v[12:13], v[16:17], s[0:1]
	v_fma_f64 v[22:23], v[54:55], v[20:21], -v[24:25]
	ds_read_b128 v[14:17], v255 offset:21600
	v_add_co_u32_e32 v24, vcc, s2, v26
	v_addc_co_u32_e32 v25, vcc, v27, v28, vcc
	v_add_co_u32_e32 v30, vcc, s2, v24
	global_store_dwordx4 v[24:25], v[10:13], off
	s_movk_i32 s4, 0x7000
	v_mul_f64 v[10:11], v[18:19], s[0:1]
	ds_read_b128 v[18:21], v255 offset:24000
	s_waitcnt vmcnt(10) lgkmcnt(1)
	v_mul_f64 v[26:27], v[16:17], v[60:61]
	v_mul_f64 v[28:29], v[14:15], v[60:61]
	;; [unrolled: 1-line block ×3, first 2 shown]
	v_mov_b32_e32 v22, s3
	v_addc_co_u32_e32 v31, vcc, v25, v22, vcc
	ds_read_b128 v[22:25], v255 offset:26400
	s_waitcnt vmcnt(6) lgkmcnt(1)
	v_mul_f64 v[32:33], v[20:21], v[4:5]
	v_mul_f64 v[4:5], v[18:19], v[4:5]
	v_fma_f64 v[26:27], v[14:15], v[58:59], v[26:27]
	v_fma_f64 v[28:29], v[58:59], v[16:17], -v[28:29]
	ds_read_b128 v[14:17], v255 offset:28800
	s_waitcnt vmcnt(5) lgkmcnt(1)
	v_mul_f64 v[34:35], v[24:25], v[8:9]
	v_mul_f64 v[36:37], v[22:23], v[8:9]
	global_store_dwordx4 v[30:31], v[10:13], off
	v_fma_f64 v[4:5], v[2:3], v[20:21], -v[4:5]
	v_fma_f64 v[12:13], v[18:19], v[2:3], v[32:33]
	v_mul_f64 v[8:9], v[26:27], s[0:1]
	v_mul_f64 v[10:11], v[28:29], s[0:1]
	v_fma_f64 v[18:19], v[22:23], v[6:7], v[34:35]
	v_fma_f64 v[20:21], v[6:7], v[24:25], -v[36:37]
	v_mov_b32_e32 v26, s3
	v_add_co_u32_e32 v22, vcc, s2, v30
	v_mul_f64 v[2:3], v[12:13], s[0:1]
	v_mul_f64 v[4:5], v[4:5], s[0:1]
	v_addc_co_u32_e32 v23, vcc, v31, v26, vcc
	global_store_dwordx4 v[22:23], v[8:11], off
	v_mul_f64 v[6:7], v[18:19], s[0:1]
	v_mul_f64 v[8:9], v[20:21], s[0:1]
	v_mov_b32_e32 v11, s3
	v_add_co_u32_e32 v10, vcc, s2, v22
	v_addc_co_u32_e32 v11, vcc, v23, v11, vcc
	global_store_dwordx4 v[10:11], v[2:5], off
	s_nop 0
	v_mov_b32_e32 v2, s3
	v_add_co_u32_e32 v4, vcc, s2, v10
	v_addc_co_u32_e32 v5, vcc, v11, v2, vcc
	v_add_co_u32_e32 v0, vcc, s4, v0
	global_store_dwordx4 v[4:5], v[6:9], off
	v_addc_co_u32_e32 v1, vcc, 0, v1, vcc
	global_load_dwordx4 v[0:3], v[0:1], off offset:128
	v_add_co_u32_e32 v4, vcc, s2, v4
	s_waitcnt vmcnt(0) lgkmcnt(0)
	v_mul_f64 v[6:7], v[16:17], v[2:3]
	v_mul_f64 v[2:3], v[14:15], v[2:3]
	v_fma_f64 v[6:7], v[14:15], v[0:1], v[6:7]
	v_fma_f64 v[2:3], v[0:1], v[16:17], -v[2:3]
	v_mul_f64 v[0:1], v[6:7], s[0:1]
	v_mul_f64 v[2:3], v[2:3], s[0:1]
	v_mov_b32_e32 v6, s3
	v_addc_co_u32_e32 v5, vcc, v5, v6, vcc
	global_store_dwordx4 v[4:5], v[0:3], off
.LBB0_23:
	s_endpgm
	.section	.rodata,"a",@progbits
	.p2align	6, 0x0
	.amdhsa_kernel bluestein_single_fwd_len1950_dim1_dp_op_CI_CI
		.amdhsa_group_segment_fixed_size 31200
		.amdhsa_private_segment_fixed_size 412
		.amdhsa_kernarg_size 104
		.amdhsa_user_sgpr_count 6
		.amdhsa_user_sgpr_private_segment_buffer 1
		.amdhsa_user_sgpr_dispatch_ptr 0
		.amdhsa_user_sgpr_queue_ptr 0
		.amdhsa_user_sgpr_kernarg_segment_ptr 1
		.amdhsa_user_sgpr_dispatch_id 0
		.amdhsa_user_sgpr_flat_scratch_init 0
		.amdhsa_user_sgpr_private_segment_size 0
		.amdhsa_uses_dynamic_stack 0
		.amdhsa_system_sgpr_private_segment_wavefront_offset 1
		.amdhsa_system_sgpr_workgroup_id_x 1
		.amdhsa_system_sgpr_workgroup_id_y 0
		.amdhsa_system_sgpr_workgroup_id_z 0
		.amdhsa_system_sgpr_workgroup_info 0
		.amdhsa_system_vgpr_workitem_id 0
		.amdhsa_next_free_vgpr 256
		.amdhsa_next_free_sgpr 56
		.amdhsa_reserve_vcc 1
		.amdhsa_reserve_flat_scratch 0
		.amdhsa_float_round_mode_32 0
		.amdhsa_float_round_mode_16_64 0
		.amdhsa_float_denorm_mode_32 3
		.amdhsa_float_denorm_mode_16_64 3
		.amdhsa_dx10_clamp 1
		.amdhsa_ieee_mode 1
		.amdhsa_fp16_overflow 0
		.amdhsa_exception_fp_ieee_invalid_op 0
		.amdhsa_exception_fp_denorm_src 0
		.amdhsa_exception_fp_ieee_div_zero 0
		.amdhsa_exception_fp_ieee_overflow 0
		.amdhsa_exception_fp_ieee_underflow 0
		.amdhsa_exception_fp_ieee_inexact 0
		.amdhsa_exception_int_div_zero 0
	.end_amdhsa_kernel
	.text
.Lfunc_end0:
	.size	bluestein_single_fwd_len1950_dim1_dp_op_CI_CI, .Lfunc_end0-bluestein_single_fwd_len1950_dim1_dp_op_CI_CI
                                        ; -- End function
	.section	.AMDGPU.csdata,"",@progbits
; Kernel info:
; codeLenInByte = 22592
; NumSgprs: 60
; NumVgprs: 256
; ScratchSize: 412
; MemoryBound: 0
; FloatMode: 240
; IeeeMode: 1
; LDSByteSize: 31200 bytes/workgroup (compile time only)
; SGPRBlocks: 7
; VGPRBlocks: 63
; NumSGPRsForWavesPerEU: 60
; NumVGPRsForWavesPerEU: 256
; Occupancy: 1
; WaveLimiterHint : 1
; COMPUTE_PGM_RSRC2:SCRATCH_EN: 1
; COMPUTE_PGM_RSRC2:USER_SGPR: 6
; COMPUTE_PGM_RSRC2:TRAP_HANDLER: 0
; COMPUTE_PGM_RSRC2:TGID_X_EN: 1
; COMPUTE_PGM_RSRC2:TGID_Y_EN: 0
; COMPUTE_PGM_RSRC2:TGID_Z_EN: 0
; COMPUTE_PGM_RSRC2:TIDIG_COMP_CNT: 0
	.type	__hip_cuid_b0e3d69f57608a5c,@object ; @__hip_cuid_b0e3d69f57608a5c
	.section	.bss,"aw",@nobits
	.globl	__hip_cuid_b0e3d69f57608a5c
__hip_cuid_b0e3d69f57608a5c:
	.byte	0                               ; 0x0
	.size	__hip_cuid_b0e3d69f57608a5c, 1

	.ident	"AMD clang version 19.0.0git (https://github.com/RadeonOpenCompute/llvm-project roc-6.4.0 25133 c7fe45cf4b819c5991fe208aaa96edf142730f1d)"
	.section	".note.GNU-stack","",@progbits
	.addrsig
	.addrsig_sym __hip_cuid_b0e3d69f57608a5c
	.amdgpu_metadata
---
amdhsa.kernels:
  - .args:
      - .actual_access:  read_only
        .address_space:  global
        .offset:         0
        .size:           8
        .value_kind:     global_buffer
      - .actual_access:  read_only
        .address_space:  global
        .offset:         8
        .size:           8
        .value_kind:     global_buffer
      - .actual_access:  read_only
        .address_space:  global
        .offset:         16
        .size:           8
        .value_kind:     global_buffer
      - .actual_access:  read_only
        .address_space:  global
        .offset:         24
        .size:           8
        .value_kind:     global_buffer
      - .actual_access:  read_only
        .address_space:  global
        .offset:         32
        .size:           8
        .value_kind:     global_buffer
      - .offset:         40
        .size:           8
        .value_kind:     by_value
      - .address_space:  global
        .offset:         48
        .size:           8
        .value_kind:     global_buffer
      - .address_space:  global
        .offset:         56
        .size:           8
        .value_kind:     global_buffer
      - .address_space:  global
        .offset:         64
        .size:           8
        .value_kind:     global_buffer
      - .address_space:  global
        .offset:         72
        .size:           8
        .value_kind:     global_buffer
      - .offset:         80
        .size:           4
        .value_kind:     by_value
      - .address_space:  global
        .offset:         88
        .size:           8
        .value_kind:     global_buffer
      - .address_space:  global
        .offset:         96
        .size:           8
        .value_kind:     global_buffer
    .group_segment_fixed_size: 31200
    .kernarg_segment_align: 8
    .kernarg_segment_size: 104
    .language:       OpenCL C
    .language_version:
      - 2
      - 0
    .max_flat_workgroup_size: 195
    .name:           bluestein_single_fwd_len1950_dim1_dp_op_CI_CI
    .private_segment_fixed_size: 412
    .sgpr_count:     60
    .sgpr_spill_count: 0
    .symbol:         bluestein_single_fwd_len1950_dim1_dp_op_CI_CI.kd
    .uniform_work_group_size: 1
    .uses_dynamic_stack: false
    .vgpr_count:     256
    .vgpr_spill_count: 106
    .wavefront_size: 64
amdhsa.target:   amdgcn-amd-amdhsa--gfx906
amdhsa.version:
  - 1
  - 2
...

	.end_amdgpu_metadata
